;; amdgpu-corpus repo=ROCm/rocFFT kind=compiled arch=gfx906 opt=O3
	.text
	.amdgcn_target "amdgcn-amd-amdhsa--gfx906"
	.amdhsa_code_object_version 6
	.protected	bluestein_single_back_len4000_dim1_half_op_CI_CI ; -- Begin function bluestein_single_back_len4000_dim1_half_op_CI_CI
	.globl	bluestein_single_back_len4000_dim1_half_op_CI_CI
	.p2align	8
	.type	bluestein_single_back_len4000_dim1_half_op_CI_CI,@function
bluestein_single_back_len4000_dim1_half_op_CI_CI: ; @bluestein_single_back_len4000_dim1_half_op_CI_CI
; %bb.0:
	s_load_dwordx4 s[16:19], s[4:5], 0x28
	v_mul_u32_u24_e32 v1, 0x148, v0
	v_add_u32_sdwa v47, s6, v1 dst_sel:DWORD dst_unused:UNUSED_PAD src0_sel:DWORD src1_sel:WORD_1
	v_mov_b32_e32 v48, 0
	s_waitcnt lgkmcnt(0)
	v_cmp_gt_u64_e32 vcc, s[16:17], v[47:48]
	s_and_saveexec_b64 s[0:1], vcc
	s_cbranch_execz .LBB0_2
; %bb.1:
	s_load_dwordx4 s[8:11], s[4:5], 0x18
	s_load_dwordx4 s[0:3], s[4:5], 0x0
	s_movk_i32 s17, 0xc8
	v_mul_lo_u16_sdwa v1, v1, s17 dst_sel:DWORD dst_unused:UNUSED_PAD src0_sel:WORD_1 src1_sel:DWORD
	v_sub_u16_e32 v74, v0, v1
	s_waitcnt lgkmcnt(0)
	s_load_dwordx4 s[12:15], s[8:9], 0x0
	v_lshlrev_b32_e32 v76, 2, v74
	global_load_dword v75, v76, s[0:1]
	s_movk_i32 s16, 0x3000
	v_mov_b32_e32 v60, 0xffffcae0
	s_waitcnt lgkmcnt(0)
	v_mad_u64_u32 v[0:1], s[6:7], s14, v47, 0
	v_mad_u64_u32 v[2:3], s[6:7], s12, v74, 0
	s_movk_i32 s14, 0x1000
	v_add_u32_e32 v80, 0xc00, v76
	v_mad_u64_u32 v[4:5], s[6:7], s15, v47, v[1:2]
	s_movk_i32 s15, 0x2000
	v_add_u32_e32 v68, 0x3200, v76
	v_mad_u64_u32 v[5:6], s[6:7], s13, v74, v[3:4]
	v_mov_b32_e32 v1, v4
	v_lshlrev_b64 v[0:1], 2, v[0:1]
	v_mov_b32_e32 v6, s19
	v_mov_b32_e32 v3, v5
	v_add_co_u32_e32 v4, vcc, s18, v0
	v_addc_co_u32_e32 v5, vcc, v6, v1, vcc
	v_lshlrev_b64 v[0:1], 2, v[2:3]
	s_mul_i32 s6, s13, 0x640
	v_add_co_u32_e32 v0, vcc, v4, v0
	s_mul_hi_u32 s7, s12, 0x640
	v_addc_co_u32_e32 v1, vcc, v5, v1, vcc
	s_add_i32 s6, s7, s6
	s_mul_i32 s7, s12, 0x640
	global_load_dword v6, v[0:1], off
	v_mov_b32_e32 v3, s6
	v_add_co_u32_e32 v0, vcc, s7, v0
	v_addc_co_u32_e32 v1, vcc, v1, v3, vcc
	global_load_dword v7, v[0:1], off
	global_load_dword v73, v76, s[0:1] offset:1600
	v_mov_b32_e32 v2, s1
	v_add_co_u32_e32 v82, vcc, s0, v76
	v_addc_co_u32_e32 v83, vcc, 0, v2, vcc
	v_mov_b32_e32 v2, s6
	v_add_co_u32_e32 v0, vcc, s7, v0
	v_addc_co_u32_e32 v1, vcc, v1, v2, vcc
	global_load_dword v8, v[0:1], off
	global_load_dword v71, v76, s[0:1] offset:3200
	v_add_co_u32_e32 v0, vcc, s7, v0
	v_addc_co_u32_e32 v1, vcc, v1, v2, vcc
	v_add_co_u32_e32 v2, vcc, s14, v82
	global_load_dword v9, v[0:1], off
	v_addc_co_u32_e32 v3, vcc, 0, v83, vcc
	global_load_dword v69, v[2:3], off offset:704
	v_mov_b32_e32 v4, s6
	v_add_co_u32_e32 v0, vcc, s7, v0
	v_addc_co_u32_e32 v1, vcc, v1, v4, vcc
	global_load_dword v10, v[0:1], off
	global_load_dword v67, v[2:3], off offset:2304
	v_add_co_u32_e32 v0, vcc, s7, v0
	v_addc_co_u32_e32 v1, vcc, v1, v4, vcc
	global_load_dword v11, v[0:1], off
	global_load_dword v65, v[2:3], off offset:3904
	v_add_co_u32_e32 v0, vcc, s7, v0
	v_addc_co_u32_e32 v1, vcc, v1, v4, vcc
	v_add_co_u32_e32 v4, vcc, s15, v82
	v_addc_co_u32_e32 v5, vcc, 0, v83, vcc
	global_load_dword v12, v[0:1], off
	global_load_dword v62, v[4:5], off offset:1408
	v_mov_b32_e32 v13, s6
	v_add_co_u32_e32 v0, vcc, s7, v0
	v_addc_co_u32_e32 v1, vcc, v1, v13, vcc
	s_load_dwordx4 s[8:11], s[10:11], 0x0
	global_load_dword v57, v76, s[0:1] offset:4000
	global_load_dword v58, v76, s[0:1] offset:2400
	;; [unrolled: 1-line block ×3, first 2 shown]
	global_load_dword v64, v[4:5], off offset:3008
	v_add_u32_e32 v77, 0x1900, v76
	v_add_u32_e32 v72, 0x2500, v76
	;; [unrolled: 1-line block ×7, first 2 shown]
	s_load_dwordx2 s[4:5], s[4:5], 0x38
	s_waitcnt vmcnt(16)
	v_lshrrev_b32_e32 v14, 16, v6
	v_mul_f16_sdwa v15, v75, v6 dst_sel:DWORD dst_unused:UNUSED_PAD src0_sel:WORD_1 src1_sel:DWORD
	v_mul_f16_sdwa v16, v75, v14 dst_sel:DWORD dst_unused:UNUSED_PAD src0_sel:WORD_1 src1_sel:DWORD
	v_fma_f16 v14, v75, v14, -v15
	v_fma_f16 v6, v75, v6, v16
	s_waitcnt vmcnt(15)
	v_lshrrev_b32_e32 v15, 16, v7
	s_waitcnt vmcnt(14)
	v_mul_f16_sdwa v17, v73, v7 dst_sel:DWORD dst_unused:UNUSED_PAD src0_sel:WORD_1 src1_sel:DWORD
	v_mul_f16_sdwa v16, v73, v15 dst_sel:DWORD dst_unused:UNUSED_PAD src0_sel:WORD_1 src1_sel:DWORD
	v_fma_f16 v15, v73, v15, -v17
	v_fma_f16 v7, v73, v7, v16
	v_pack_b32_f16 v7, v7, v15
	ds_write_b32 v76, v7 offset:1600
	global_load_dword v7, v[0:1], off
	v_pack_b32_f16 v6, v6, v14
	v_add_co_u32_e32 v0, vcc, s7, v0
	s_waitcnt vmcnt(14)
	v_lshrrev_b32_e32 v13, 16, v8
	s_waitcnt vmcnt(13)
	v_mul_f16_sdwa v14, v71, v13 dst_sel:DWORD dst_unused:UNUSED_PAD src0_sel:WORD_1 src1_sel:DWORD
	v_fma_f16 v14, v71, v8, v14
	v_mul_f16_sdwa v8, v71, v8 dst_sel:DWORD dst_unused:UNUSED_PAD src0_sel:WORD_1 src1_sel:DWORD
	v_fma_f16 v8, v71, v13, -v8
	v_pack_b32_f16 v8, v14, v8
	ds_write_b32 v76, v8 offset:3200
	global_load_dword v55, v[2:3], off offset:3104
	global_load_dword v56, v[2:3], off offset:1504
	s_waitcnt vmcnt(14)
	v_lshrrev_b32_e32 v8, 16, v9
	v_mov_b32_e32 v13, s6
	v_mov_b32_e32 v14, s6
	s_waitcnt vmcnt(13)
	v_mul_f16_sdwa v2, v69, v8 dst_sel:DWORD dst_unused:UNUSED_PAD src0_sel:WORD_1 src1_sel:DWORD
	v_mul_f16_sdwa v3, v69, v9 dst_sel:DWORD dst_unused:UNUSED_PAD src0_sel:WORD_1 src1_sel:DWORD
	v_fma_f16 v2, v69, v9, v2
	v_fma_f16 v3, v69, v8, -v3
	v_pack_b32_f16 v2, v2, v3
	ds_write_b32 v76, v2 offset:4800
	s_waitcnt vmcnt(12)
	v_lshrrev_b32_e32 v2, 16, v10
	s_waitcnt vmcnt(11)
	v_mul_f16_sdwa v3, v67, v2 dst_sel:DWORD dst_unused:UNUSED_PAD src0_sel:WORD_1 src1_sel:DWORD
	v_mul_f16_sdwa v8, v67, v10 dst_sel:DWORD dst_unused:UNUSED_PAD src0_sel:WORD_1 src1_sel:DWORD
	v_fma_f16 v3, v67, v10, v3
	v_fma_f16 v2, v67, v2, -v8
	v_pack_b32_f16 v2, v3, v2
	ds_write_b32 v76, v2 offset:6400
	s_waitcnt vmcnt(10)
	v_lshrrev_b32_e32 v2, 16, v11
	s_waitcnt vmcnt(9)
	v_mul_f16_sdwa v3, v65, v2 dst_sel:DWORD dst_unused:UNUSED_PAD src0_sel:WORD_1 src1_sel:DWORD
	v_mul_f16_sdwa v8, v65, v11 dst_sel:DWORD dst_unused:UNUSED_PAD src0_sel:WORD_1 src1_sel:DWORD
	v_fma_f16 v3, v65, v11, v3
	v_fma_f16 v2, v65, v2, -v8
	v_pack_b32_f16 v2, v3, v2
	ds_write_b32 v76, v2 offset:8000
	global_load_dword v52, v[4:5], off offset:3808
	global_load_dword v53, v[4:5], off offset:2208
	;; [unrolled: 1-line block ×3, first 2 shown]
	v_mov_b32_e32 v5, s6
	v_addc_co_u32_e32 v1, vcc, v1, v5, vcc
	v_add_co_u32_e32 v48, vcc, s16, v82
	global_load_dword v5, v[0:1], off
	v_addc_co_u32_e32 v49, vcc, 0, v83, vcc
	global_load_dword v63, v[48:49], off offset:512
	v_mov_b32_e32 v8, s6
	v_add_co_u32_e32 v0, vcc, s7, v0
	v_addc_co_u32_e32 v1, vcc, v1, v8, vcc
	global_load_dword v8, v[0:1], off
	global_load_dword v61, v[48:49], off offset:2112
	v_mad_u64_u32 v[0:1], s[0:1], s12, v60, v[0:1]
	s_mul_i32 s0, s13, 0xffffcae0
	s_sub_i32 s0, s0, s12
	s_waitcnt vmcnt(15)
	v_lshrrev_b32_e32 v2, 16, v12
	s_waitcnt vmcnt(14)
	v_mul_f16_sdwa v4, v62, v12 dst_sel:DWORD dst_unused:UNUSED_PAD src0_sel:WORD_1 src1_sel:DWORD
	v_add_u32_e32 v1, s0, v1
	v_mul_f16_sdwa v3, v62, v2 dst_sel:DWORD dst_unused:UNUSED_PAD src0_sel:WORD_1 src1_sel:DWORD
	v_fma_f16 v2, v62, v2, -v4
	global_load_dword v4, v[0:1], off
	v_fma_f16 v3, v62, v12, v3
	v_pack_b32_f16 v2, v3, v2
	v_mov_b32_e32 v3, s6
	v_add_co_u32_e32 v0, vcc, s7, v0
	v_addc_co_u32_e32 v1, vcc, v1, v3, vcc
	global_load_dword v3, v[0:1], off
	ds_write_b32 v76, v2 offset:9600
	v_mov_b32_e32 v2, s6
	v_add_co_u32_e32 v0, vcc, s7, v0
	v_addc_co_u32_e32 v1, vcc, v1, v2, vcc
	global_load_dword v2, v[0:1], off
	v_mov_b32_e32 v10, s6
	v_add_co_u32_e32 v0, vcc, s7, v0
	v_addc_co_u32_e32 v1, vcc, v1, v10, vcc
	global_load_dword v10, v[0:1], off
	;; [unrolled: 4-line block ×3, first 2 shown]
	v_add_co_u32_e32 v0, vcc, s7, v0
	v_addc_co_u32_e32 v1, vcc, v1, v13, vcc
	global_load_dword v13, v[0:1], off
	v_add_co_u32_e32 v0, vcc, s7, v0
	s_waitcnt vmcnt(15)
	v_lshrrev_b32_e32 v9, 16, v7
	v_addc_co_u32_e32 v1, vcc, v1, v14, vcc
	v_mul_f16_sdwa v11, v64, v9 dst_sel:DWORD dst_unused:UNUSED_PAD src0_sel:WORD_1 src1_sel:DWORD
	global_load_dword v14, v[0:1], off
	v_fma_f16 v11, v64, v7, v11
	v_mul_f16_sdwa v7, v64, v7 dst_sel:DWORD dst_unused:UNUSED_PAD src0_sel:WORD_1 src1_sel:DWORD
	v_fma_f16 v7, v64, v9, -v7
	v_mov_b32_e32 v9, s6
	v_add_co_u32_e32 v0, vcc, s7, v0
	v_addc_co_u32_e32 v1, vcc, v1, v9, vcc
	global_load_dword v9, v[0:1], off
	v_mov_b32_e32 v15, s6
	v_add_co_u32_e32 v0, vcc, s7, v0
	v_addc_co_u32_e32 v1, vcc, v1, v15, vcc
	global_load_dword v15, v[0:1], off
	global_load_dword v50, v[48:49], off offset:2912
	global_load_dword v51, v[48:49], off offset:1312
	v_mov_b32_e32 v16, s6
	v_add_co_u32_e32 v0, vcc, s7, v0
	v_addc_co_u32_e32 v1, vcc, v1, v16, vcc
	global_load_dword v0, v[0:1], off
	v_pack_b32_f16 v1, v11, v7
	ds_write_b32 v76, v1 offset:11200
	s_waitcnt vmcnt(15)
	v_lshrrev_b32_e32 v1, 16, v5
	s_waitcnt vmcnt(14)
	v_mul_f16_sdwa v7, v63, v1 dst_sel:DWORD dst_unused:UNUSED_PAD src0_sel:WORD_1 src1_sel:DWORD
	v_fma_f16 v7, v63, v5, v7
	v_mul_f16_sdwa v5, v63, v5 dst_sel:DWORD dst_unused:UNUSED_PAD src0_sel:WORD_1 src1_sel:DWORD
	v_fma_f16 v1, v63, v1, -v5
	v_pack_b32_f16 v1, v7, v1
	ds_write_b32 v76, v1 offset:12800
	s_waitcnt vmcnt(13)
	v_lshrrev_b32_e32 v1, 16, v8
	s_waitcnt vmcnt(12)
	v_mul_f16_sdwa v5, v61, v1 dst_sel:DWORD dst_unused:UNUSED_PAD src0_sel:WORD_1 src1_sel:DWORD
	v_mul_f16_sdwa v7, v61, v8 dst_sel:DWORD dst_unused:UNUSED_PAD src0_sel:WORD_1 src1_sel:DWORD
	v_fma_f16 v5, v61, v8, v5
	v_fma_f16 v1, v61, v1, -v7
	v_pack_b32_f16 v1, v5, v1
	ds_write_b32 v76, v1 offset:14400
	s_movk_i32 s1, 0x3b9c
	s_mov_b32 s7, 0xbb9c
	s_mov_b32 s12, 0xb8b4
	s_waitcnt vmcnt(11)
	v_lshrrev_b32_e32 v1, 16, v4
	v_mul_f16_sdwa v5, v59, v1 dst_sel:DWORD dst_unused:UNUSED_PAD src0_sel:WORD_1 src1_sel:DWORD
	v_fma_f16 v5, v59, v4, v5
	v_mul_f16_sdwa v4, v59, v4 dst_sel:DWORD dst_unused:UNUSED_PAD src0_sel:WORD_1 src1_sel:DWORD
	v_fma_f16 v1, v59, v1, -v4
	v_pack_b32_f16 v1, v5, v1
	ds_write2_b32 v76, v6, v1 offset1:200
	s_movk_i32 s0, 0x38b4
	s_waitcnt vmcnt(10)
	v_lshrrev_b32_e32 v1, 16, v3
	v_mul_f16_sdwa v4, v58, v1 dst_sel:DWORD dst_unused:UNUSED_PAD src0_sel:WORD_1 src1_sel:DWORD
	v_fma_f16 v4, v58, v3, v4
	v_mul_f16_sdwa v3, v58, v3 dst_sel:DWORD dst_unused:UNUSED_PAD src0_sel:WORD_1 src1_sel:DWORD
	v_fma_f16 v1, v58, v1, -v3
	v_pack_b32_f16 v1, v4, v1
	ds_write_b32 v76, v1 offset:2400
	s_waitcnt vmcnt(9)
	v_lshrrev_b32_e32 v1, 16, v2
	v_mul_f16_sdwa v3, v57, v1 dst_sel:DWORD dst_unused:UNUSED_PAD src0_sel:WORD_1 src1_sel:DWORD
	v_fma_f16 v3, v57, v2, v3
	v_mul_f16_sdwa v2, v57, v2 dst_sel:DWORD dst_unused:UNUSED_PAD src0_sel:WORD_1 src1_sel:DWORD
	v_fma_f16 v1, v57, v1, -v2
	v_pack_b32_f16 v1, v3, v1
	ds_write_b32 v76, v1 offset:4000
	s_waitcnt vmcnt(8)
	v_lshrrev_b32_e32 v1, 16, v10
	v_mul_f16_sdwa v2, v56, v1 dst_sel:DWORD dst_unused:UNUSED_PAD src0_sel:WORD_1 src1_sel:DWORD
	v_mul_f16_sdwa v3, v56, v10 dst_sel:DWORD dst_unused:UNUSED_PAD src0_sel:WORD_1 src1_sel:DWORD
	v_fma_f16 v2, v56, v10, v2
	v_fma_f16 v1, v56, v1, -v3
	v_pack_b32_f16 v1, v2, v1
	ds_write_b32 v76, v1 offset:5600
	s_waitcnt vmcnt(7)
	v_lshrrev_b32_e32 v1, 16, v12
	v_mul_f16_sdwa v2, v55, v1 dst_sel:DWORD dst_unused:UNUSED_PAD src0_sel:WORD_1 src1_sel:DWORD
	v_mul_f16_sdwa v3, v55, v12 dst_sel:DWORD dst_unused:UNUSED_PAD src0_sel:WORD_1 src1_sel:DWORD
	v_fma_f16 v2, v55, v12, v2
	;; [unrolled: 8-line block ×5, first 2 shown]
	v_fma_f16 v1, v52, v1, -v3
	v_pack_b32_f16 v1, v2, v1
	ds_write_b32 v76, v1 offset:12000
	s_waitcnt vmcnt(3)
	v_lshrrev_b32_e32 v1, 16, v15
	s_waitcnt vmcnt(1)
	v_mul_f16_sdwa v2, v51, v1 dst_sel:DWORD dst_unused:UNUSED_PAD src0_sel:WORD_1 src1_sel:DWORD
	v_mul_f16_sdwa v3, v51, v15 dst_sel:DWORD dst_unused:UNUSED_PAD src0_sel:WORD_1 src1_sel:DWORD
	v_fma_f16 v2, v51, v15, v2
	v_fma_f16 v1, v51, v1, -v3
	v_pack_b32_f16 v1, v2, v1
	ds_write_b32 v76, v1 offset:13600
	s_waitcnt vmcnt(0)
	v_lshrrev_b32_e32 v1, 16, v0
	v_mul_f16_sdwa v2, v50, v1 dst_sel:DWORD dst_unused:UNUSED_PAD src0_sel:WORD_1 src1_sel:DWORD
	v_fma_f16 v2, v50, v0, v2
	v_mul_f16_sdwa v0, v50, v0 dst_sel:DWORD dst_unused:UNUSED_PAD src0_sel:WORD_1 src1_sel:DWORD
	v_fma_f16 v0, v50, v1, -v0
	v_pack_b32_f16 v0, v2, v0
	ds_write_b32 v76, v0 offset:15200
	s_waitcnt lgkmcnt(0)
	s_barrier
	ds_read2_b32 v[2:3], v80 offset0:32 offset1:232
	ds_read2_b32 v[10:11], v68 offset1:200
	ds_read2_b32 v[0:1], v76 offset1:200
	;; [unrolled: 1-line block ×3, first 2 shown]
	ds_read2_b32 v[6:7], v72 offset0:32 offset1:232
	s_movk_i32 s6, 0x34f2
	s_waitcnt lgkmcnt(3)
	v_add_f16_e32 v14, v2, v10
	s_waitcnt lgkmcnt(2)
	v_fma_f16 v14, v14, -0.5, v0
	v_sub_f16_sdwa v24, v2, v10 dst_sel:DWORD dst_unused:UNUSED_PAD src0_sel:WORD_1 src1_sel:WORD_1
	s_waitcnt lgkmcnt(0)
	v_sub_f16_sdwa v25, v4, v6 dst_sel:DWORD dst_unused:UNUSED_PAD src0_sel:WORD_1 src1_sel:WORD_1
	v_fma_f16 v15, v25, s7, v14
	v_sub_f16_e32 v16, v6, v10
	v_sub_f16_e32 v17, v4, v2
	v_fma_f16 v14, v25, s1, v14
	v_add_f16_e32 v16, v17, v16
	v_fma_f16 v14, v24, s12, v14
	v_fma_f16 v15, v24, s0, v15
	;; [unrolled: 1-line block ×3, first 2 shown]
	v_lshrrev_b32_e32 v22, 16, v0
	v_add_f16_sdwa v14, v2, v10 dst_sel:DWORD dst_unused:UNUSED_PAD src0_sel:WORD_1 src1_sel:WORD_1
	v_fma_f16 v26, v16, s6, v15
	v_sub_f16_e32 v29, v4, v6
	v_fma_f16 v14, v14, -0.5, v22
	v_sub_f16_sdwa v15, v4, v2 dst_sel:DWORD dst_unused:UNUSED_PAD src0_sel:WORD_1 src1_sel:WORD_1
	v_sub_f16_sdwa v16, v6, v10 dst_sel:DWORD dst_unused:UNUSED_PAD src0_sel:WORD_1 src1_sel:WORD_1
	v_sub_f16_e32 v28, v2, v10
	v_add_f16_e32 v18, v15, v16
	v_fma_f16 v15, v29, s1, v14
	v_fma_f16 v15, v28, s12, v15
	;; [unrolled: 1-line block ×3, first 2 shown]
	ds_read2_b32 v[8:9], v70 offset0:48 offset1:248
	ds_read2_b32 v[12:13], v66 offset0:16 offset1:216
	v_fma_f16 v30, v18, s6, v15
	v_fma_f16 v19, v28, s0, v14
	ds_read2_b32 v[14:15], v79 offset0:48 offset1:248
	ds_read2_b32 v[16:17], v78 offset0:16 offset1:216
	v_fma_f16 v31, v18, s6, v19
	ds_read2_b32 v[18:19], v81 offset0:16 offset1:216
	s_waitcnt lgkmcnt(3)
	v_sub_f16_e32 v20, v8, v12
	s_waitcnt lgkmcnt(2)
	v_sub_f16_sdwa v32, v14, v12 dst_sel:DWORD dst_unused:UNUSED_PAD src0_sel:WORD_1 src1_sel:WORD_1
	s_waitcnt lgkmcnt(1)
	v_sub_f16_e32 v21, v16, v14
	v_add_f16_e32 v20, v21, v20
	v_add_f16_e32 v21, v14, v12
	s_waitcnt lgkmcnt(0)
	v_fma_f16 v21, v21, -0.5, v18
	v_sub_f16_sdwa v33, v16, v8 dst_sel:DWORD dst_unused:UNUSED_PAD src0_sel:WORD_1 src1_sel:WORD_1
	v_fma_f16 v23, v33, s7, v21
	v_fma_f16 v21, v33, s1, v21
	;; [unrolled: 1-line block ×6, first 2 shown]
	v_sub_f16_sdwa v21, v16, v14 dst_sel:DWORD dst_unused:UNUSED_PAD src0_sel:WORD_1 src1_sel:WORD_1
	v_sub_f16_sdwa v34, v8, v12 dst_sel:DWORD dst_unused:UNUSED_PAD src0_sel:WORD_1 src1_sel:WORD_1
	v_add_f16_e32 v21, v21, v34
	v_lshrrev_b32_e32 v34, 16, v18
	v_add_f16_sdwa v35, v14, v12 dst_sel:DWORD dst_unused:UNUSED_PAD src0_sel:WORD_1 src1_sel:WORD_1
	v_fma_f16 v35, v35, -0.5, v34
	v_sub_f16_e32 v37, v16, v8
	v_sub_f16_e32 v36, v14, v12
	v_fma_f16 v38, v37, s1, v35
	v_fma_f16 v38, v36, s12, v38
	;; [unrolled: 1-line block ×6, first 2 shown]
	v_mul_f16_e32 v35, 0x3b9c, v38
	v_fma_f16 v35, v23, s6, v35
	v_mul_f16_e32 v23, 0xbb9c, v23
	v_fma_f16 v38, v38, s6, v23
	v_mul_f16_e32 v23, 0xb4f2, v20
	v_fma_f16 v39, v21, s1, v23
	v_mul_f16_e32 v21, 0xb4f2, v21
	v_fma_f16 v40, v20, s7, v21
	v_add_f16_e32 v20, v27, v39
	v_add_f16_e32 v21, v31, v40
	v_pack_b32_f16 v21, v20, v21
	v_add_f16_e32 v20, v26, v35
	v_add_f16_e32 v23, v30, v38
	v_pack_b32_f16 v20, v20, v23
	v_sub_f16_e32 v23, v10, v6
	v_sub_f16_e32 v41, v2, v4
	v_add_f16_e32 v41, v41, v23
	v_add_f16_sdwa v23, v4, v6 dst_sel:DWORD dst_unused:UNUSED_PAD src0_sel:WORD_1 src1_sel:WORD_1
	v_fma_f16 v42, v23, -0.5, v22
	v_sub_f16_sdwa v22, v2, v4 dst_sel:DWORD dst_unused:UNUSED_PAD src0_sel:WORD_1 src1_sel:WORD_1
	v_sub_f16_sdwa v23, v10, v6 dst_sel:DWORD dst_unused:UNUSED_PAD src0_sel:WORD_1 src1_sel:WORD_1
	v_add_f16_e32 v43, v22, v23
	v_sub_f16_e32 v22, v12, v8
	v_sub_f16_e32 v23, v14, v16
	v_add_f16_e32 v44, v23, v22
	v_add_f16_sdwa v22, v16, v8 dst_sel:DWORD dst_unused:UNUSED_PAD src0_sel:WORD_1 src1_sel:WORD_1
	v_fma_f16 v34, v22, -0.5, v34
	v_sub_f16_sdwa v22, v14, v16 dst_sel:DWORD dst_unused:UNUSED_PAD src0_sel:WORD_1 src1_sel:WORD_1
	v_sub_f16_sdwa v23, v12, v8 dst_sel:DWORD dst_unused:UNUSED_PAD src0_sel:WORD_1 src1_sel:WORD_1
	v_add_f16_e32 v45, v22, v23
	v_add_f16_e32 v22, v16, v8
	v_fma_f16 v46, v22, -0.5, v18
	v_fma_f16 v22, v32, s1, v46
	v_fma_f16 v22, v33, s0, v22
	;; [unrolled: 1-line block ×5, first 2 shown]
	s_movk_i32 s13, 0x3a79
	v_fma_f16 v23, v45, s6, v23
	v_mul_f16_e32 v84, 0x3a79, v22
	v_mul_f16_e32 v22, 0xb8b4, v22
	v_fma_f16 v86, v23, s13, v22
	v_mul_lo_u16_e32 v22, 10, v74
	v_lshlrev_b32_e32 v85, 2, v22
	v_add_f16_e32 v22, v4, v6
	v_fma_f16 v87, v22, -0.5, v0
	v_pk_add_f16 v0, v0, v2
	v_fma_f16 v22, v24, s1, v87
	v_pk_add_f16 v0, v0, v4
	v_fma_f16 v2, v28, s7, v42
	;; [unrolled: 2-line block ×3, first 2 shown]
	v_fma_f16 v2, v29, s12, v2
	v_pk_add_f16 v4, v4, v16
	v_fma_f16 v84, v23, s0, v84
	v_fma_f16 v88, v41, s6, v22
	v_pk_add_f16 v0, v0, v6
	v_fma_f16 v2, v43, s6, v2
	v_pk_add_f16 v4, v4, v8
	v_pk_add_f16 v0, v0, v10
	;; [unrolled: 1-line block ×3, first 2 shown]
	v_add_f16_e32 v6, v88, v84
	v_add_f16_e32 v8, v2, v86
	v_pack_b32_f16 v23, v6, v8
	v_pk_add_f16 v22, v0, v4
	v_sub_f16_e32 v8, v26, v35
	v_sub_f16_e32 v10, v30, v38
	s_barrier
	ds_write2_b64 v85, v[22:23], v[20:21] offset1:1
	v_pack_b32_f16 v21, v8, v10
	v_fma_f16 v8, v32, s7, v46
	v_fma_f16 v8, v33, s12, v8
	;; [unrolled: 1-line block ×3, first 2 shown]
	v_sub_f16_e32 v6, v88, v84
	v_sub_f16_e32 v2, v2, v86
	v_fma_f16 v8, v44, s6, v8
	v_fma_f16 v10, v37, s0, v10
	v_pack_b32_f16 v20, v6, v2
	v_fma_f16 v2, v24, s7, v87
	v_fma_f16 v6, v28, s1, v42
	;; [unrolled: 1-line block ×3, first 2 shown]
	v_mul_f16_e32 v12, 0xba79, v8
	v_fma_f16 v2, v25, s12, v2
	v_fma_f16 v6, v29, s0, v6
	;; [unrolled: 1-line block ×3, first 2 shown]
	v_mul_f16_e32 v10, 0xba79, v10
	v_fma_f16 v2, v41, s6, v2
	v_fma_f16 v6, v43, s6, v6
	;; [unrolled: 1-line block ×3, first 2 shown]
	v_pk_add_f16 v23, v0, v4 neg_lo:[0,1] neg_hi:[0,1]
	v_add_f16_e32 v0, v2, v12
	v_add_f16_e32 v4, v6, v8
	v_pack_b32_f16 v22, v0, v4
	v_pk_add_f16 v0, v1, v3
	v_pk_add_f16 v0, v0, v5
	;; [unrolled: 1-line block ×3, first 2 shown]
	ds_write2_b64 v85, v[22:23], v[20:21] offset0:2 offset1:3
	v_add_f16_e32 v4, v5, v7
	v_sub_f16_sdwa v10, v5, v7 dst_sel:DWORD dst_unused:UNUSED_PAD src0_sel:WORD_1 src1_sel:WORD_1
	v_add_f16_sdwa v18, v5, v7 dst_sel:DWORD dst_unused:UNUSED_PAD src0_sel:WORD_1 src1_sel:WORD_1
	v_sub_f16_e32 v20, v5, v7
	v_sub_f16_sdwa v22, v3, v11 dst_sel:DWORD dst_unused:UNUSED_PAD src0_sel:WORD_1 src1_sel:WORD_1
	v_add_f16_e32 v23, v3, v11
	v_sub_f16_e32 v24, v3, v11
	v_add_f16_sdwa v25, v3, v11 dst_sel:DWORD dst_unused:UNUSED_PAD src0_sel:WORD_1 src1_sel:WORD_1
	v_sub_f16_e32 v26, v11, v7
	v_sub_f16_e32 v28, v7, v11
	v_sub_f16_sdwa v29, v11, v7 dst_sel:DWORD dst_unused:UNUSED_PAD src0_sel:WORD_1 src1_sel:WORD_1
	v_sub_f16_sdwa v7, v7, v11 dst_sel:DWORD dst_unused:UNUSED_PAD src0_sel:WORD_1 src1_sel:WORD_1
	v_pk_add_f16 v11, v0, v11
	v_pk_add_f16 v0, v19, v15
	;; [unrolled: 1-line block ×4, first 2 shown]
	v_sub_f16_e32 v14, v3, v5
	v_sub_f16_e32 v16, v5, v3
	v_sub_f16_sdwa v21, v3, v5 dst_sel:DWORD dst_unused:UNUSED_PAD src0_sel:WORD_1 src1_sel:WORD_1
	v_sub_f16_sdwa v5, v5, v3 dst_sel:DWORD dst_unused:UNUSED_PAD src0_sel:WORD_1 src1_sel:WORD_1
	v_add_f16_e32 v30, v17, v9
	v_sub_f16_sdwa v32, v17, v9 dst_sel:DWORD dst_unused:UNUSED_PAD src0_sel:WORD_1 src1_sel:WORD_1
	v_sub_f16_e32 v33, v15, v17
	v_sub_f16_e32 v34, v17, v15
	v_add_f16_sdwa v35, v17, v9 dst_sel:DWORD dst_unused:UNUSED_PAD src0_sel:WORD_1 src1_sel:WORD_1
	v_sub_f16_e32 v36, v17, v9
	v_sub_f16_sdwa v37, v15, v17 dst_sel:DWORD dst_unused:UNUSED_PAD src0_sel:WORD_1 src1_sel:WORD_1
	v_sub_f16_sdwa v17, v17, v15 dst_sel:DWORD dst_unused:UNUSED_PAD src0_sel:WORD_1 src1_sel:WORD_1
	;; [unrolled: 1-line block ×3, first 2 shown]
	v_add_f16_e32 v41, v15, v13
	v_sub_f16_e32 v42, v15, v13
	v_add_f16_sdwa v15, v15, v13 dst_sel:DWORD dst_unused:UNUSED_PAD src0_sel:WORD_1 src1_sel:WORD_1
	v_sub_f16_e32 v43, v13, v9
	v_sub_f16_e32 v44, v9, v13
	v_sub_f16_sdwa v45, v13, v9 dst_sel:DWORD dst_unused:UNUSED_PAD src0_sel:WORD_1 src1_sel:WORD_1
	v_sub_f16_sdwa v9, v9, v13 dst_sel:DWORD dst_unused:UNUSED_PAD src0_sel:WORD_1 src1_sel:WORD_1
	v_pk_add_f16 v13, v0, v13
	v_sub_f16_e32 v0, v27, v39
	v_sub_f16_e32 v2, v2, v12
	;; [unrolled: 1-line block ×4, first 2 shown]
	v_pack_b32_f16 v3, v2, v3
	v_pack_b32_f16 v2, v0, v12
	ds_write_b64 v85, v[2:3] offset:32
	v_fma_f16 v2, v4, -0.5, v1
	v_fma_f16 v3, v22, s1, v2
	v_fma_f16 v2, v22, s7, v2
	v_fma_f16 v4, v23, -0.5, v1
	v_lshrrev_b32_e32 v1, 16, v1
	v_add_f16_e32 v0, v14, v26
	v_fma_f16 v3, v10, s0, v3
	v_fma_f16 v2, v10, s12, v2
	;; [unrolled: 1-line block ×4, first 2 shown]
	v_fma_f16 v8, v18, -0.5, v1
	v_fma_f16 v3, v0, s6, v3
	v_fma_f16 v0, v0, s6, v2
	v_add_f16_e32 v2, v16, v28
	v_fma_f16 v6, v22, s0, v6
	v_fma_f16 v4, v22, s12, v4
	;; [unrolled: 1-line block ×6, first 2 shown]
	v_add_f16_e32 v4, v21, v29
	v_fma_f16 v10, v20, s12, v10
	v_fma_f16 v8, v20, s0, v8
	v_fma_f16 v1, v25, -0.5, v1
	v_fma_f16 v10, v4, s6, v10
	v_fma_f16 v4, v4, s6, v8
	v_add_f16_e32 v5, v5, v7
	v_fma_f16 v7, v20, s1, v1
	v_fma_f16 v1, v20, s7, v1
	v_fma_f16 v8, v30, -0.5, v19
	v_fma_f16 v7, v24, s12, v7
	v_fma_f16 v1, v24, s0, v1
	;; [unrolled: 1-line block ×4, first 2 shown]
	v_fma_f16 v14, v41, -0.5, v19
	v_fma_f16 v7, v5, s6, v7
	v_fma_f16 v5, v5, s6, v1
	v_add_f16_e32 v1, v33, v43
	v_fma_f16 v12, v32, s0, v12
	v_fma_f16 v8, v32, s12, v8
	v_fma_f16 v16, v32, s7, v14
	v_fma_f16 v14, v32, s1, v14
	v_fma_f16 v12, v1, s6, v12
	v_fma_f16 v1, v1, s6, v8
	v_add_f16_e32 v8, v34, v44
	v_fma_f16 v16, v38, s0, v16
	v_fma_f16 v14, v38, s12, v14
	;; [unrolled: 1-line block ×4, first 2 shown]
	v_lshrrev_b32_e32 v14, 16, v19
	v_fma_f16 v19, v35, -0.5, v14
	v_fma_f16 v14, v15, -0.5, v14
	v_fma_f16 v15, v36, s1, v14
	v_add_f16_e32 v9, v17, v9
	v_add_co_u32_e32 v31, vcc, s17, v74
	v_fma_f16 v15, v42, s12, v15
	v_mul_u32_u24_e32 v17, 10, v31
	v_fma_f16 v15, v9, s6, v15
	v_fma_f16 v14, v36, s7, v14
	v_lshlrev_b32_e32 v86, 2, v17
	v_mul_f16_e32 v17, 0x3b9c, v15
	v_fma_f16 v14, v42, s0, v14
	v_fma_f16 v17, v16, s6, v17
	v_mul_f16_e32 v16, 0xbb9c, v16
	v_fma_f16 v20, v42, s7, v19
	v_fma_f16 v19, v42, s1, v19
	;; [unrolled: 1-line block ×4, first 2 shown]
	v_mul_f16_e32 v16, 0xb4f2, v8
	v_add_f16_e32 v18, v37, v45
	v_fma_f16 v20, v36, s12, v20
	v_fma_f16 v19, v36, s0, v19
	;; [unrolled: 1-line block ×3, first 2 shown]
	v_mul_f16_e32 v9, 0xb4f2, v9
	v_fma_f16 v20, v18, s6, v20
	v_fma_f16 v18, v18, s6, v19
	v_mul_f16_e32 v14, 0x3a79, v12
	v_mul_f16_e32 v12, 0xb8b4, v12
	v_fma_f16 v8, v8, s7, v9
	v_mul_f16_e32 v9, 0xba79, v1
	v_fma_f16 v14, v20, s0, v14
	v_fma_f16 v12, v20, s13, v12
	;; [unrolled: 1-line block ×3, first 2 shown]
	v_mul_f16_e32 v18, 0xba79, v18
	v_fma_f16 v18, v1, s12, v18
	v_add_f16_e32 v1, v3, v14
	v_sub_f16_e32 v14, v3, v14
	v_add_f16_e32 v19, v6, v17
	v_sub_f16_e32 v6, v6, v17
	;; [unrolled: 2-line block ×5, first 2 shown]
	v_add_f16_e32 v2, v7, v15
	v_add_f16_e32 v12, v5, v8
	v_pack_b32_f16 v1, v1, v0
	v_pk_add_f16 v0, v11, v13
	v_sub_f16_e32 v7, v7, v15
	v_sub_f16_e32 v5, v5, v8
	v_add_f16_e32 v8, v4, v18
	v_pack_b32_f16 v3, v3, v12
	v_pack_b32_f16 v2, v19, v2
	v_sub_f16_e32 v4, v4, v18
	ds_write2_b64 v86, v[0:1], v[2:3] offset1:1
	v_pk_add_f16 v1, v11, v13 neg_lo:[0,1] neg_hi:[0,1]
	v_pack_b32_f16 v2, v14, v10
	v_pack_b32_f16 v3, v6, v7
	;; [unrolled: 1-line block ×3, first 2 shown]
	ds_write2_b64 v86, v[0:1], v[2:3] offset0:2 offset1:3
	v_pack_b32_f16 v1, v9, v4
	v_pack_b32_f16 v0, v16, v5
	s_movk_i32 s17, 0xcd
	ds_write_b64 v86, v[0:1] offset:32
	v_mul_lo_u16_sdwa v0, v74, s17 dst_sel:DWORD dst_unused:UNUSED_PAD src0_sel:BYTE_0 src1_sel:DWORD
	v_lshrrev_b16_e32 v20, 11, v0
	v_mul_lo_u16_e32 v0, 10, v20
	v_sub_u16_e32 v0, v74, v0
	v_and_b32_e32 v21, 0xff, v0
	v_mad_u64_u32 v[8:9], s[18:19], v21, 36, s[2:3]
	s_waitcnt lgkmcnt(0)
	s_barrier
	global_load_dwordx4 v[4:7], v[8:9], off
	global_load_dwordx4 v[0:3], v[8:9], off offset:16
	global_load_dword v84, v[8:9], off offset:32
	ds_read2_b32 v[13:14], v80 offset0:32 offset1:232
	ds_read2_b32 v[8:9], v77 offset1:200
	ds_read2_b32 v[23:24], v79 offset0:48 offset1:248
	ds_read2_b32 v[25:26], v78 offset0:16 offset1:216
	;; [unrolled: 1-line block ×3, first 2 shown]
	s_waitcnt lgkmcnt(4)
	v_lshrrev_b32_e32 v10, 16, v13
	s_waitcnt lgkmcnt(3)
	v_lshrrev_b32_e32 v12, 16, v8
	ds_read2_b32 v[29:30], v66 offset0:16 offset1:216
	ds_read2_b32 v[40:41], v81 offset0:16 offset1:216
	v_mul_u32_u24_e32 v20, 0x64, v20
	v_add_lshl_u32 v87, v20, v21, 2
	s_mov_b32 s17, 0xcccd
	s_waitcnt lgkmcnt(1)
	v_lshrrev_b32_e32 v22, 16, v29
	s_waitcnt vmcnt(2)
	v_mul_f16_sdwa v11, v10, v5 dst_sel:DWORD dst_unused:UNUSED_PAD src0_sel:DWORD src1_sel:WORD_1
	v_fma_f16 v33, v13, v5, -v11
	v_mul_f16_sdwa v11, v13, v5 dst_sel:DWORD dst_unused:UNUSED_PAD src0_sel:DWORD src1_sel:WORD_1
	v_fma_f16 v15, v10, v5, v11
	ds_read2_b32 v[10:11], v72 offset0:32 offset1:232
	v_mul_f16_sdwa v13, v8, v7 dst_sel:DWORD dst_unused:UNUSED_PAD src0_sel:DWORD src1_sel:WORD_1
	v_fma_f16 v32, v12, v7, v13
	v_mul_f16_sdwa v12, v12, v7 dst_sel:DWORD dst_unused:UNUSED_PAD src0_sel:DWORD src1_sel:WORD_1
	v_fma_f16 v34, v8, v7, -v12
	ds_read2_b32 v[12:13], v68 offset1:200
	s_waitcnt lgkmcnt(1)
	v_lshrrev_b32_e32 v16, 16, v10
	s_waitcnt vmcnt(1)
	v_mul_f16_sdwa v8, v10, v1 dst_sel:DWORD dst_unused:UNUSED_PAD src0_sel:DWORD src1_sel:WORD_1
	v_fma_f16 v8, v16, v1, v8
	v_mul_f16_sdwa v16, v16, v1 dst_sel:DWORD dst_unused:UNUSED_PAD src0_sel:DWORD src1_sel:WORD_1
	v_fma_f16 v35, v10, v1, -v16
	s_waitcnt lgkmcnt(0)
	v_lshrrev_b32_e32 v16, 16, v12
	v_mul_f16_sdwa v10, v12, v3 dst_sel:DWORD dst_unused:UNUSED_PAD src0_sel:DWORD src1_sel:WORD_1
	v_fma_f16 v10, v16, v3, v10
	v_mul_f16_sdwa v16, v16, v3 dst_sel:DWORD dst_unused:UNUSED_PAD src0_sel:DWORD src1_sel:WORD_1
	v_fma_f16 v12, v12, v3, -v16
	v_sub_f16_e32 v16, v33, v34
	v_sub_f16_e32 v17, v12, v35
	v_add_f16_e32 v36, v16, v17
	v_sub_f16_e32 v16, v15, v32
	v_sub_f16_e32 v17, v10, v8
	v_add_f16_e32 v37, v16, v17
	v_lshrrev_b32_e32 v16, 16, v23
	v_mul_f16_sdwa v17, v23, v6 dst_sel:DWORD dst_unused:UNUSED_PAD src0_sel:DWORD src1_sel:WORD_1
	v_fma_f16 v44, v16, v6, v17
	v_mul_f16_sdwa v16, v16, v6 dst_sel:DWORD dst_unused:UNUSED_PAD src0_sel:DWORD src1_sel:WORD_1
	v_fma_f16 v45, v23, v6, -v16
	v_lshrrev_b32_e32 v16, 16, v25
	v_mul_f16_sdwa v17, v25, v0 dst_sel:DWORD dst_unused:UNUSED_PAD src0_sel:DWORD src1_sel:WORD_1
	v_fma_f16 v46, v16, v0, v17
	v_mul_f16_sdwa v16, v16, v0 dst_sel:DWORD dst_unused:UNUSED_PAD src0_sel:DWORD src1_sel:WORD_1
	v_fma_f16 v89, v25, v0, -v16
	v_lshrrev_b32_e32 v16, 16, v27
	v_mul_f16_sdwa v17, v27, v2 dst_sel:DWORD dst_unused:UNUSED_PAD src0_sel:DWORD src1_sel:WORD_1
	s_waitcnt vmcnt(0)
	v_mul_f16_sdwa v23, v29, v84 dst_sel:DWORD dst_unused:UNUSED_PAD src0_sel:DWORD src1_sel:WORD_1
	v_fma_f16 v90, v16, v2, v17
	v_mul_f16_sdwa v16, v16, v2 dst_sel:DWORD dst_unused:UNUSED_PAD src0_sel:DWORD src1_sel:WORD_1
	v_fma_f16 v93, v22, v84, v23
	v_mul_f16_sdwa v22, v22, v84 dst_sel:DWORD dst_unused:UNUSED_PAD src0_sel:DWORD src1_sel:WORD_1
	v_fma_f16 v27, v27, v2, -v16
	v_fma_f16 v29, v29, v84, -v22
	v_sub_f16_e32 v22, v45, v89
	v_sub_f16_e32 v23, v29, v27
	v_add_f16_e32 v94, v22, v23
	v_sub_f16_e32 v22, v44, v46
	v_sub_f16_e32 v23, v93, v90
	v_add_f16_e32 v95, v22, v23
	v_lshrrev_b32_e32 v22, 16, v40
	v_mul_f16_sdwa v23, v40, v4 dst_sel:DWORD dst_unused:UNUSED_PAD src0_sel:DWORD src1_sel:WORD_1
	v_fma_f16 v96, v22, v4, v23
	v_mul_f16_sdwa v22, v22, v4 dst_sel:DWORD dst_unused:UNUSED_PAD src0_sel:DWORD src1_sel:WORD_1
	v_add_f16_e32 v23, v46, v90
	v_fma_f16 v40, v40, v4, -v22
	v_add_f16_e32 v22, v89, v27
	v_fma_f16 v100, v23, -0.5, v96
	v_sub_f16_e32 v101, v45, v29
	v_fma_f16 v97, v22, -0.5, v40
	v_sub_f16_e32 v98, v44, v93
	v_fma_f16 v23, v101, s7, v100
	v_sub_f16_e32 v102, v89, v27
	v_fma_f16 v22, v98, s1, v97
	;; [unrolled: 2-line block ×3, first 2 shown]
	v_fma_f16 v22, v99, s0, v22
	v_fma_f16 v23, v95, s6, v23
	;; [unrolled: 1-line block ×3, first 2 shown]
	v_mul_f16_e32 v42, 0x38b4, v23
	v_fma_f16 v103, v22, s13, v42
	ds_read2_b32 v[42:43], v76 offset1:200
	v_mul_u32_u24_sdwa v16, v31, s17 dst_sel:DWORD dst_unused:UNUSED_PAD src0_sel:WORD_0 src1_sel:DWORD
	v_lshrrev_b32_e32 v91, 19, v16
	v_mul_lo_u16_e32 v16, 10, v91
	v_sub_u16_e32 v92, v31, v16
	s_waitcnt lgkmcnt(0)
	v_add_f16_e32 v20, v42, v33
	v_add_f16_e32 v20, v20, v34
	;; [unrolled: 1-line block ×3, first 2 shown]
	v_lshrrev_b32_e32 v106, 16, v42
	v_add_f16_e32 v105, v20, v12
	v_add_f16_e32 v20, v106, v15
	;; [unrolled: 1-line block ×10, first 2 shown]
	v_mul_lo_u16_e32 v16, 36, v92
	v_add_f16_e32 v20, v20, v46
	v_mov_b32_e32 v25, s3
	v_add_co_u32_e32 v38, vcc, s2, v16
	v_add_f16_e32 v20, v20, v90
	v_addc_co_u32_e32 v39, vcc, 0, v25, vcc
	v_add_f16_e32 v109, v20, v93
	global_load_dwordx4 v[16:19], v[38:39], off
	v_add_f16_e32 v20, v105, v108
	v_add_f16_e32 v21, v107, v109
	v_pack_b32_f16 v110, v20, v21
	v_add_f16_e32 v20, v34, v35
	v_fma_f16 v111, v20, -0.5, v42
	v_sub_f16_e32 v112, v15, v10
	v_fma_f16 v20, v112, s1, v111
	v_sub_f16_e32 v113, v32, v8
	v_fma_f16 v20, v113, s0, v20
	v_fma_f16 v114, v36, s6, v20
	v_add_f16_e32 v20, v32, v8
	v_fma_f16 v115, v20, -0.5, v106
	v_sub_f16_e32 v116, v33, v12
	v_fma_f16 v20, v116, s7, v115
	v_sub_f16_e32 v117, v34, v35
	v_mul_f16_e32 v22, 0xb8b4, v22
	v_fma_f16 v20, v117, s12, v20
	v_fma_f16 v104, v23, s13, v22
	;; [unrolled: 1-line block ×3, first 2 shown]
	v_add_f16_e32 v20, v114, v103
	v_add_f16_e32 v21, v118, v104
	v_pack_b32_f16 v119, v20, v21
	global_load_dword v88, v[38:39], off offset:32
	global_load_dwordx4 v[20:23], v[38:39], off offset:16
	v_sub_f16_e32 v34, v34, v33
	v_add_f16_e32 v33, v33, v12
	v_sub_f16_e32 v12, v35, v12
	v_fma_f16 v33, v33, -0.5, v42
	v_add_f16_e32 v12, v34, v12
	v_fma_f16 v34, v113, s7, v33
	v_fma_f16 v33, v113, s1, v33
	;; [unrolled: 1-line block ×6, first 2 shown]
	v_add_f16_e32 v33, v15, v10
	v_fma_f16 v33, v33, -0.5, v106
	v_sub_f16_e32 v15, v32, v15
	v_sub_f16_e32 v8, v8, v10
	v_add_f16_e32 v8, v15, v8
	v_fma_f16 v10, v117, s1, v33
	v_fma_f16 v15, v117, s7, v33
	;; [unrolled: 1-line block ×6, first 2 shown]
	v_add_f16_e32 v15, v45, v29
	v_fma_f16 v15, v15, -0.5, v40
	v_sub_f16_e32 v32, v89, v45
	v_sub_f16_e32 v27, v27, v29
	v_fma_f16 v29, v99, s7, v15
	v_fma_f16 v15, v99, s1, v15
	v_add_f16_e32 v27, v32, v27
	v_fma_f16 v29, v98, s0, v29
	v_fma_f16 v15, v98, s12, v15
	;; [unrolled: 1-line block ×4, first 2 shown]
	v_add_f16_e32 v27, v44, v93
	v_fma_f16 v27, v27, -0.5, v96
	v_sub_f16_e32 v32, v46, v44
	v_sub_f16_e32 v33, v90, v93
	v_add_f16_e32 v32, v32, v33
	v_fma_f16 v33, v102, s1, v27
	v_fma_f16 v33, v101, s12, v33
	;; [unrolled: 1-line block ×6, first 2 shown]
	v_mul_f16_e32 v32, 0x3b9c, v33
	v_fma_f16 v32, v29, s6, v32
	v_mul_f16_e32 v29, 0xbb9c, v29
	v_fma_f16 v29, v33, s6, v29
	;; [unrolled: 2-line block ×4, first 2 shown]
	v_add_f16_e32 v27, v34, v32
	v_add_f16_e32 v35, v10, v29
	v_pack_b32_f16 v27, v27, v35
	v_add_f16_e32 v35, v12, v33
	v_add_f16_e32 v38, v8, v15
	v_pack_b32_f16 v35, v35, v38
	s_waitcnt vmcnt(0)
	s_barrier
	ds_write2_b32 v87, v27, v35 offset0:20 offset1:30
	v_fma_f16 v27, v112, s7, v111
	v_fma_f16 v27, v113, s12, v27
	;; [unrolled: 1-line block ×12, first 2 shown]
	v_mul_f16_e32 v38, 0xba79, v36
	v_fma_f16 v38, v37, s0, v38
	v_mul_f16_e32 v37, 0xba79, v37
	v_fma_f16 v36, v36, s12, v37
	v_sub_f16_e32 v37, v105, v108
	v_sub_f16_e32 v39, v107, v109
	v_add_f16_e32 v40, v27, v38
	v_add_f16_e32 v42, v35, v36
	v_pack_b32_f16 v40, v40, v42
	v_pack_b32_f16 v37, v37, v39
	ds_write2_b32 v87, v40, v37 offset0:40 offset1:50
	v_sub_f16_e32 v37, v114, v103
	v_sub_f16_e32 v32, v34, v32
	;; [unrolled: 1-line block ×4, first 2 shown]
	v_pack_b32_f16 v29, v37, v34
	v_pack_b32_f16 v10, v32, v10
	ds_write2_b32 v87, v29, v10 offset0:60 offset1:70
	v_sub_f16_e32 v10, v12, v33
	v_sub_f16_e32 v12, v27, v38
	;; [unrolled: 1-line block ×4, first 2 shown]
	v_pack_b32_f16 v8, v10, v8
	v_pack_b32_f16 v10, v12, v15
	ds_write2_b32 v87, v8, v10 offset0:80 offset1:90
	v_lshrrev_b32_e32 v8, 16, v41
	v_mul_f16_sdwa v12, v41, v16 dst_sel:DWORD dst_unused:UNUSED_PAD src0_sel:DWORD src1_sel:WORD_1
	v_mul_f16_sdwa v10, v8, v16 dst_sel:DWORD dst_unused:UNUSED_PAD src0_sel:DWORD src1_sel:WORD_1
	v_fma_f16 v8, v8, v16, v12
	v_lshrrev_b32_e32 v12, 16, v14
	v_mul_f16_sdwa v15, v12, v17 dst_sel:DWORD dst_unused:UNUSED_PAD src0_sel:DWORD src1_sel:WORD_1
	v_fma_f16 v15, v14, v17, -v15
	v_mul_f16_sdwa v14, v14, v17 dst_sel:DWORD dst_unused:UNUSED_PAD src0_sel:DWORD src1_sel:WORD_1
	v_fma_f16 v12, v12, v17, v14
	v_lshrrev_b32_e32 v14, 16, v24
	v_mul_f16_sdwa v27, v14, v18 dst_sel:DWORD dst_unused:UNUSED_PAD src0_sel:DWORD src1_sel:WORD_1
	v_fma_f16 v27, v24, v18, -v27
	v_mul_f16_sdwa v24, v24, v18 dst_sel:DWORD dst_unused:UNUSED_PAD src0_sel:DWORD src1_sel:WORD_1
	v_fma_f16 v14, v14, v18, v24
	v_lshrrev_b32_e32 v24, 16, v9
	v_mul_f16_sdwa v29, v24, v19 dst_sel:DWORD dst_unused:UNUSED_PAD src0_sel:DWORD src1_sel:WORD_1
	v_fma_f16 v29, v9, v19, -v29
	v_mul_f16_sdwa v9, v9, v19 dst_sel:DWORD dst_unused:UNUSED_PAD src0_sel:DWORD src1_sel:WORD_1
	v_fma_f16 v9, v24, v19, v9
	v_lshrrev_b32_e32 v24, 16, v26
	v_mul_f16_sdwa v32, v24, v20 dst_sel:DWORD dst_unused:UNUSED_PAD src0_sel:DWORD src1_sel:WORD_1
	v_fma_f16 v32, v26, v20, -v32
	v_mul_f16_sdwa v26, v26, v20 dst_sel:DWORD dst_unused:UNUSED_PAD src0_sel:DWORD src1_sel:WORD_1
	v_fma_f16 v24, v24, v20, v26
	v_lshrrev_b32_e32 v26, 16, v11
	v_mul_f16_sdwa v33, v26, v21 dst_sel:DWORD dst_unused:UNUSED_PAD src0_sel:DWORD src1_sel:WORD_1
	v_fma_f16 v33, v11, v21, -v33
	v_mul_f16_sdwa v11, v11, v21 dst_sel:DWORD dst_unused:UNUSED_PAD src0_sel:DWORD src1_sel:WORD_1
	v_fma_f16 v11, v26, v21, v11
	v_lshrrev_b32_e32 v26, 16, v28
	v_mul_f16_sdwa v34, v26, v22 dst_sel:DWORD dst_unused:UNUSED_PAD src0_sel:DWORD src1_sel:WORD_1
	v_fma_f16 v34, v28, v22, -v34
	v_mul_f16_sdwa v28, v28, v22 dst_sel:DWORD dst_unused:UNUSED_PAD src0_sel:DWORD src1_sel:WORD_1
	v_fma_f16 v26, v26, v22, v28
	v_lshrrev_b32_e32 v28, 16, v13
	v_mul_f16_sdwa v35, v28, v23 dst_sel:DWORD dst_unused:UNUSED_PAD src0_sel:DWORD src1_sel:WORD_1
	v_fma_f16 v35, v13, v23, -v35
	v_mul_f16_sdwa v13, v13, v23 dst_sel:DWORD dst_unused:UNUSED_PAD src0_sel:DWORD src1_sel:WORD_1
	v_fma_f16 v13, v28, v23, v13
	v_lshrrev_b32_e32 v28, 16, v30
	v_mul_f16_sdwa v36, v28, v88 dst_sel:DWORD dst_unused:UNUSED_PAD src0_sel:DWORD src1_sel:WORD_1
	v_fma_f16 v10, v41, v16, -v10
	v_fma_f16 v36, v30, v88, -v36
	v_mul_f16_sdwa v30, v30, v88 dst_sel:DWORD dst_unused:UNUSED_PAD src0_sel:DWORD src1_sel:WORD_1
	v_sub_f16_e32 v40, v15, v29
	v_sub_f16_e32 v41, v35, v33
	v_fma_f16 v28, v28, v88, v30
	v_add_f16_e32 v30, v29, v33
	v_add_f16_e32 v37, v15, v35
	;; [unrolled: 1-line block ×3, first 2 shown]
	v_sub_f16_e32 v41, v12, v9
	v_sub_f16_e32 v42, v13, v11
	v_fma_f16 v30, v30, -0.5, v43
	v_fma_f16 v37, v37, -0.5, v43
	v_lshrrev_b32_e32 v38, 16, v43
	v_add_f16_e32 v39, v43, v15
	v_add_f16_e32 v41, v41, v42
	v_sub_f16_e32 v42, v27, v32
	v_sub_f16_e32 v43, v36, v34
	v_add_f16_e32 v42, v42, v43
	v_sub_f16_e32 v43, v14, v24
	v_sub_f16_e32 v44, v28, v26
	v_add_f16_e32 v89, v24, v26
	v_add_f16_e32 v43, v43, v44
	;; [unrolled: 1-line block ×3, first 2 shown]
	v_fma_f16 v93, v89, -0.5, v8
	v_sub_f16_e32 v94, v27, v36
	v_fma_f16 v44, v44, -0.5, v10
	v_sub_f16_e32 v45, v14, v28
	v_fma_f16 v89, v94, s7, v93
	v_sub_f16_e32 v95, v32, v34
	v_fma_f16 v46, v45, s1, v44
	;; [unrolled: 2-line block ×3, first 2 shown]
	v_fma_f16 v46, v90, s0, v46
	v_fma_f16 v89, v43, s6, v89
	;; [unrolled: 1-line block ×3, first 2 shown]
	v_mul_f16_e32 v96, 0x38b4, v89
	v_fma_f16 v96, v46, s13, v96
	v_mul_f16_e32 v46, 0xb8b4, v46
	s_movk_i32 s17, 0x64
	v_fma_f16 v46, v89, s13, v46
	v_mad_legacy_u16 v89, v91, s17, v92
	v_add_f16_e32 v91, v38, v12
	v_add_f16_e32 v92, v10, v27
	;; [unrolled: 1-line block ×17, first 2 shown]
	v_sub_f16_e32 v101, v9, v11
	v_sub_f16_e32 v103, v15, v35
	v_sub_f16_e32 v105, v29, v33
	v_sub_f16_e32 v15, v29, v15
	v_sub_f16_e32 v29, v33, v35
	v_pack_b32_f16 v98, v98, v99
	v_sub_f16_e32 v99, v12, v13
	v_add_f16_e32 v15, v15, v29
	v_fma_f16 v29, v101, s7, v37
	v_fma_f16 v33, v101, s1, v37
	;; [unrolled: 1-line block ×6, first 2 shown]
	v_add_f16_e32 v33, v12, v13
	v_add_f16_e32 v102, v9, v11
	v_fma_f16 v33, v33, -0.5, v38
	v_sub_f16_e32 v9, v9, v12
	v_sub_f16_e32 v11, v11, v13
	v_add_f16_e32 v9, v9, v11
	v_fma_f16 v11, v105, s1, v33
	v_fma_f16 v12, v105, s7, v33
	v_fma_f16 v11, v103, s12, v11
	v_fma_f16 v12, v103, s0, v12
	v_fma_f16 v11, v9, s6, v11
	v_fma_f16 v9, v9, s6, v12
	v_add_f16_e32 v12, v27, v36
	v_fma_f16 v10, v12, -0.5, v10
	v_sub_f16_e32 v12, v32, v27
	v_sub_f16_e32 v13, v34, v36
	v_add_f16_e32 v12, v12, v13
	v_fma_f16 v13, v90, s7, v10
	v_fma_f16 v10, v90, s1, v10
	v_fma_f16 v13, v45, s0, v13
	v_fma_f16 v10, v45, s12, v10
	v_fma_f16 v13, v12, s6, v13
	v_fma_f16 v10, v12, s6, v10
	v_add_f16_e32 v12, v14, v28
	v_fma_f16 v8, v12, -0.5, v8
	v_sub_f16_e32 v12, v24, v14
	v_sub_f16_e32 v14, v26, v28
	v_add_f16_e32 v12, v12, v14
	v_fma_f16 v14, v95, s1, v8
	v_fma_f16 v14, v94, s12, v14
	v_fma_f16 v8, v95, s7, v8
	v_fma_f16 v14, v12, s6, v14
	v_fma_f16 v8, v94, s0, v8
	v_fma_f16 v8, v12, s6, v8
	v_mul_f16_e32 v12, 0x3b9c, v14
	v_fma_f16 v12, v13, s6, v12
	v_mul_f16_e32 v13, 0xbb9c, v13
	v_fma_f16 v13, v14, s6, v13
	;; [unrolled: 2-line block ×4, first 2 shown]
	v_add_f16_e32 v10, v29, v12
	v_add_f16_e32 v24, v11, v13
	v_pack_b32_f16 v10, v10, v24
	v_add_f16_e32 v24, v15, v14
	v_add_f16_e32 v26, v9, v8
	v_pack_b32_f16 v24, v24, v26
	v_fma_f16 v26, v45, s7, v44
	v_fma_f16 v26, v90, s12, v26
	;; [unrolled: 1-line block ×3, first 2 shown]
	v_fma_f16 v102, v102, -0.5, v38
	v_lshlrev_b32_e32 v89, 2, v89
	v_fma_f16 v26, v42, s6, v26
	v_fma_f16 v27, v95, s0, v27
	ds_write2_b32 v87, v110, v119 offset1:10
	ds_write2_b32 v89, v10, v24 offset0:20 offset1:30
	v_fma_f16 v10, v99, s7, v30
	v_fma_f16 v24, v103, s1, v102
	;; [unrolled: 1-line block ×3, first 2 shown]
	v_mul_f16_e32 v28, 0xba79, v26
	v_fma_f16 v10, v101, s12, v10
	v_fma_f16 v24, v105, s0, v24
	;; [unrolled: 1-line block ×3, first 2 shown]
	v_mul_f16_e32 v27, 0xba79, v27
	v_fma_f16 v100, v99, s1, v30
	v_fma_f16 v104, v103, s7, v102
	;; [unrolled: 1-line block ×7, first 2 shown]
	v_sub_f16_e32 v27, v39, v92
	v_sub_f16_e32 v30, v91, v97
	v_add_f16_e32 v32, v10, v28
	v_add_f16_e32 v33, v24, v26
	v_fma_f16 v100, v40, s6, v100
	v_fma_f16 v104, v41, s6, v104
	v_pack_b32_f16 v32, v32, v33
	v_pack_b32_f16 v27, v27, v30
	ds_write2_b32 v89, v32, v27 offset0:40 offset1:50
	v_sub_f16_e32 v27, v100, v96
	v_sub_f16_e32 v12, v29, v12
	v_sub_f16_e32 v29, v104, v46
	v_sub_f16_e32 v11, v11, v13
	v_pack_b32_f16 v13, v27, v29
	v_pack_b32_f16 v11, v12, v11
	ds_write2_b32 v89, v13, v11 offset0:60 offset1:70
	v_sub_f16_e32 v11, v15, v14
	v_sub_f16_e32 v10, v10, v28
	;; [unrolled: 1-line block ×4, first 2 shown]
	v_pack_b32_f16 v8, v11, v8
	v_pack_b32_f16 v9, v10, v9
	ds_write2_b32 v89, v8, v9 offset0:80 offset1:90
	v_add_u32_e32 v8, 0xffffff9c, v74
	v_cmp_gt_u16_e32 vcc, s17, v74
	v_cndmask_b32_e32 v30, v8, v74, vcc
	v_mul_i32_i24_e32 v9, 36, v30
	v_add_f16_e32 v106, v100, v96
	v_add_f16_e32 v107, v104, v46
	v_mul_hi_i32_i24_e32 v8, 36, v30
	v_add_co_u32_e32 v26, vcc, s2, v9
	v_pack_b32_f16 v106, v106, v107
	v_addc_co_u32_e32 v27, vcc, v25, v8, vcc
	ds_write2_b32 v89, v98, v106 offset1:10
	s_waitcnt lgkmcnt(0)
	s_barrier
	global_load_dwordx4 v[12:15], v[26:27], off offset:360
	global_load_dwordx4 v[8:11], v[26:27], off offset:376
	global_load_dword v90, v[26:27], off offset:392
	v_lshrrev_b16_e32 v24, 2, v31
	v_mul_u32_u24_e32 v24, 0x147b, v24
	v_lshrrev_b32_e32 v46, 17, v24
	ds_read2_b32 v[36:37], v80 offset0:32 offset1:232
	v_mul_lo_u16_e32 v24, 0x64, v46
	v_sub_u16_e32 v97, v31, v24
	v_mul_lo_u16_e32 v24, 36, v97
	ds_read2_b32 v[31:32], v77 offset1:200
	v_add_co_u32_e32 v28, vcc, s2, v24
	v_addc_co_u32_e32 v29, vcc, 0, v25, vcc
	s_waitcnt lgkmcnt(1)
	v_lshrrev_b32_e32 v24, 16, v36
	ds_read2_b32 v[33:34], v72 offset0:32 offset1:232
	ds_read2_b32 v[38:39], v79 offset0:48 offset1:248
	;; [unrolled: 1-line block ×6, first 2 shown]
	ds_read2_b32 v[104:105], v76 offset1:200
	s_movk_i32 s17, 0x63
	v_cmp_lt_u16_e32 vcc, s17, v74
	s_movk_i32 s17, 0x3e8
	v_mad_legacy_u16 v46, v46, s17, v97
	s_waitcnt lgkmcnt(0)
	v_lshrrev_b32_e32 v122, 16, v104
	s_waitcnt vmcnt(2)
	v_mul_f16_sdwa v25, v36, v13 dst_sel:DWORD dst_unused:UNUSED_PAD src0_sel:DWORD src1_sel:WORD_1
	v_fma_f16 v93, v24, v13, v25
	v_mul_f16_sdwa v24, v24, v13 dst_sel:DWORD dst_unused:UNUSED_PAD src0_sel:DWORD src1_sel:WORD_1
	v_fma_f16 v95, v36, v13, -v24
	ds_read2_b32 v[35:36], v68 offset1:200
	v_lshrrev_b32_e32 v24, 16, v31
	v_mul_f16_sdwa v25, v31, v15 dst_sel:DWORD dst_unused:UNUSED_PAD src0_sel:DWORD src1_sel:WORD_1
	v_fma_f16 v94, v24, v15, v25
	v_mul_f16_sdwa v24, v24, v15 dst_sel:DWORD dst_unused:UNUSED_PAD src0_sel:DWORD src1_sel:WORD_1
	v_fma_f16 v98, v31, v15, -v24
	v_lshrrev_b32_e32 v24, 16, v33
	s_waitcnt vmcnt(1)
	v_mul_f16_sdwa v25, v33, v9 dst_sel:DWORD dst_unused:UNUSED_PAD src0_sel:DWORD src1_sel:WORD_1
	v_fma_f16 v96, v24, v9, v25
	v_mul_f16_sdwa v24, v24, v9 dst_sel:DWORD dst_unused:UNUSED_PAD src0_sel:DWORD src1_sel:WORD_1
	v_fma_f16 v99, v33, v9, -v24
	s_waitcnt lgkmcnt(0)
	v_lshrrev_b32_e32 v24, 16, v35
	v_mul_f16_sdwa v25, v35, v11 dst_sel:DWORD dst_unused:UNUSED_PAD src0_sel:DWORD src1_sel:WORD_1
	v_fma_f16 v33, v24, v11, v25
	v_mul_f16_sdwa v24, v24, v11 dst_sel:DWORD dst_unused:UNUSED_PAD src0_sel:DWORD src1_sel:WORD_1
	v_fma_f16 v35, v35, v11, -v24
	v_sub_f16_e32 v24, v95, v98
	v_sub_f16_e32 v25, v35, v99
	v_add_f16_e32 v100, v24, v25
	v_sub_f16_e32 v24, v93, v94
	v_sub_f16_e32 v25, v33, v96
	v_add_f16_e32 v101, v24, v25
	v_lshrrev_b32_e32 v24, 16, v38
	v_mul_f16_sdwa v25, v38, v14 dst_sel:DWORD dst_unused:UNUSED_PAD src0_sel:DWORD src1_sel:WORD_1
	v_fma_f16 v106, v24, v14, v25
	v_mul_f16_sdwa v24, v24, v14 dst_sel:DWORD dst_unused:UNUSED_PAD src0_sel:DWORD src1_sel:WORD_1
	v_fma_f16 v38, v38, v14, -v24
	v_lshrrev_b32_e32 v24, 16, v40
	v_mul_f16_sdwa v25, v40, v8 dst_sel:DWORD dst_unused:UNUSED_PAD src0_sel:DWORD src1_sel:WORD_1
	v_fma_f16 v107, v24, v8, v25
	v_mul_f16_sdwa v24, v24, v8 dst_sel:DWORD dst_unused:UNUSED_PAD src0_sel:DWORD src1_sel:WORD_1
	v_fma_f16 v40, v40, v8, -v24
	v_lshrrev_b32_e32 v24, 16, v42
	v_mul_f16_sdwa v25, v42, v10 dst_sel:DWORD dst_unused:UNUSED_PAD src0_sel:DWORD src1_sel:WORD_1
	v_lshrrev_b32_e32 v31, 16, v44
	s_waitcnt vmcnt(0)
	v_mul_f16_sdwa v91, v44, v90 dst_sel:DWORD dst_unused:UNUSED_PAD src0_sel:DWORD src1_sel:WORD_1
	v_fma_f16 v108, v24, v10, v25
	v_mul_f16_sdwa v24, v24, v10 dst_sel:DWORD dst_unused:UNUSED_PAD src0_sel:DWORD src1_sel:WORD_1
	v_fma_f16 v109, v31, v90, v91
	v_mul_f16_sdwa v31, v31, v90 dst_sel:DWORD dst_unused:UNUSED_PAD src0_sel:DWORD src1_sel:WORD_1
	v_fma_f16 v42, v42, v10, -v24
	v_fma_f16 v44, v44, v90, -v31
	v_sub_f16_e32 v31, v38, v40
	v_sub_f16_e32 v91, v44, v42
	v_add_f16_e32 v110, v31, v91
	v_sub_f16_e32 v31, v106, v107
	v_sub_f16_e32 v91, v109, v108
	v_add_f16_e32 v111, v31, v91
	v_lshrrev_b32_e32 v31, 16, v102
	v_mul_f16_sdwa v91, v102, v12 dst_sel:DWORD dst_unused:UNUSED_PAD src0_sel:DWORD src1_sel:WORD_1
	v_fma_f16 v112, v31, v12, v91
	v_mul_f16_sdwa v31, v31, v12 dst_sel:DWORD dst_unused:UNUSED_PAD src0_sel:DWORD src1_sel:WORD_1
	v_add_f16_e32 v91, v107, v108
	v_fma_f16 v102, v102, v12, -v31
	v_add_f16_e32 v31, v40, v42
	v_fma_f16 v116, v91, -0.5, v112
	v_sub_f16_e32 v117, v38, v44
	v_fma_f16 v113, v31, -0.5, v102
	v_sub_f16_e32 v114, v106, v109
	v_fma_f16 v91, v117, s7, v116
	v_sub_f16_e32 v118, v40, v42
	v_fma_f16 v31, v114, s1, v113
	;; [unrolled: 2-line block ×3, first 2 shown]
	v_fma_f16 v31, v115, s0, v31
	v_fma_f16 v91, v111, s6, v91
	;; [unrolled: 1-line block ×3, first 2 shown]
	v_mul_f16_e32 v92, 0x38b4, v91
	v_fma_f16 v119, v31, s13, v92
	v_mul_f16_e32 v31, 0xb8b4, v31
	v_fma_f16 v120, v91, s13, v31
	v_mov_b32_e32 v31, 0x3e8
	v_cndmask_b32_e32 v31, 0, v31, vcc
	v_add_lshl_u32 v92, v30, v31, 2
	v_add_f16_e32 v30, v104, v95
	v_add_f16_e32 v30, v30, v98
	;; [unrolled: 1-line block ×16, first 2 shown]
	global_load_dwordx4 v[24:27], v[28:29], off offset:360
	v_add_f16_e32 v30, v121, v124
	v_add_f16_e32 v31, v123, v125
	v_pack_b32_f16 v126, v30, v31
	v_add_f16_e32 v30, v98, v99
	v_fma_f16 v127, v30, -0.5, v104
	v_sub_f16_e32 v128, v93, v33
	v_fma_f16 v30, v128, s1, v127
	v_sub_f16_e32 v129, v94, v96
	v_fma_f16 v30, v129, s0, v30
	v_fma_f16 v130, v100, s6, v30
	v_add_f16_e32 v30, v94, v96
	v_fma_f16 v131, v30, -0.5, v122
	v_sub_f16_e32 v132, v95, v35
	v_fma_f16 v30, v132, s7, v131
	v_sub_f16_e32 v133, v98, v99
	v_fma_f16 v30, v133, s12, v30
	v_fma_f16 v134, v101, s6, v30
	v_add_f16_e32 v30, v130, v119
	v_add_f16_e32 v31, v134, v120
	v_pack_b32_f16 v135, v30, v31
	global_load_dword v91, v[28:29], off offset:392
	s_nop 0
	global_load_dwordx4 v[28:31], v[28:29], off offset:376
	v_sub_f16_e32 v98, v98, v95
	v_add_f16_e32 v95, v95, v35
	v_sub_f16_e32 v35, v99, v35
	v_fma_f16 v95, v95, -0.5, v104
	v_add_f16_e32 v35, v98, v35
	v_fma_f16 v98, v129, s7, v95
	v_fma_f16 v95, v129, s1, v95
	v_fma_f16 v98, v128, s0, v98
	v_fma_f16 v95, v128, s12, v95
	v_fma_f16 v98, v35, s6, v98
	v_fma_f16 v35, v35, s6, v95
	v_add_f16_e32 v95, v93, v33
	v_fma_f16 v95, v95, -0.5, v122
	v_sub_f16_e32 v93, v94, v93
	v_sub_f16_e32 v33, v96, v33
	v_add_f16_e32 v33, v93, v33
	v_fma_f16 v93, v133, s1, v95
	v_fma_f16 v93, v132, s12, v93
	v_fma_f16 v96, v33, s6, v93
	v_fma_f16 v93, v133, s7, v95
	v_fma_f16 v93, v132, s0, v93
	v_fma_f16 v33, v33, s6, v93
	v_add_f16_e32 v93, v38, v44
	v_fma_f16 v93, v93, -0.5, v102
	v_sub_f16_e32 v38, v40, v38
	v_sub_f16_e32 v40, v42, v44
	;; [unrolled: 11-line block ×3, first 2 shown]
	v_add_f16_e32 v44, v44, v93
	v_fma_f16 v93, v118, s1, v42
	v_fma_f16 v93, v117, s12, v93
	;; [unrolled: 1-line block ×6, first 2 shown]
	v_mul_f16_e32 v44, 0x3b9c, v93
	v_fma_f16 v44, v40, s6, v44
	v_mul_f16_e32 v40, 0xbb9c, v40
	v_fma_f16 v40, v93, s6, v40
	;; [unrolled: 2-line block ×4, first 2 shown]
	v_add_f16_e32 v42, v98, v44
	v_add_f16_e32 v93, v96, v40
	v_pack_b32_f16 v42, v42, v93
	v_add_f16_e32 v93, v35, v99
	v_add_f16_e32 v94, v33, v38
	v_pack_b32_f16 v94, v93, v94
	v_add_u32_e32 v93, 0x200, v92
	s_waitcnt vmcnt(0)
	s_barrier
	ds_write2_b32 v93, v42, v94 offset0:72 offset1:172
	v_fma_f16 v42, v128, s7, v127
	v_fma_f16 v94, v132, s1, v131
	;; [unrolled: 1-line block ×12, first 2 shown]
	v_mul_f16_e32 v101, 0xba79, v94
	v_fma_f16 v101, v95, s0, v101
	v_mul_f16_e32 v95, 0xba79, v95
	v_fma_f16 v102, v94, s12, v95
	v_sub_f16_e32 v94, v121, v124
	v_sub_f16_e32 v95, v123, v125
	v_add_f16_e32 v104, v42, v101
	v_add_f16_e32 v106, v100, v102
	v_pack_b32_f16 v104, v104, v106
	v_pack_b32_f16 v95, v94, v95
	v_add_u32_e32 v94, 0x400, v92
	ds_write2_b32 v94, v104, v95 offset0:144 offset1:244
	v_sub_f16_e32 v95, v130, v119
	v_sub_f16_e32 v44, v98, v44
	;; [unrolled: 1-line block ×4, first 2 shown]
	v_pack_b32_f16 v96, v95, v98
	v_pack_b32_f16 v40, v44, v40
	v_add_u32_e32 v95, 0x800, v92
	ds_write2_b32 v95, v96, v40 offset0:88 offset1:188
	v_sub_f16_e32 v35, v35, v99
	v_sub_f16_e32 v40, v42, v101
	;; [unrolled: 1-line block ×4, first 2 shown]
	v_pack_b32_f16 v33, v35, v33
	v_pack_b32_f16 v35, v40, v38
	v_add_u32_e32 v96, 0xc00, v92
	ds_write2_b32 v96, v33, v35 offset0:32 offset1:132
	v_lshrrev_b32_e32 v33, 16, v103
	v_mul_f16_sdwa v38, v103, v24 dst_sel:DWORD dst_unused:UNUSED_PAD src0_sel:DWORD src1_sel:WORD_1
	v_mul_f16_sdwa v35, v33, v24 dst_sel:DWORD dst_unused:UNUSED_PAD src0_sel:DWORD src1_sel:WORD_1
	v_fma_f16 v33, v33, v24, v38
	v_lshrrev_b32_e32 v38, 16, v37
	v_mul_f16_sdwa v40, v38, v25 dst_sel:DWORD dst_unused:UNUSED_PAD src0_sel:DWORD src1_sel:WORD_1
	v_fma_f16 v40, v37, v25, -v40
	v_mul_f16_sdwa v37, v37, v25 dst_sel:DWORD dst_unused:UNUSED_PAD src0_sel:DWORD src1_sel:WORD_1
	v_fma_f16 v37, v38, v25, v37
	v_lshrrev_b32_e32 v38, 16, v39
	v_mul_f16_sdwa v42, v38, v26 dst_sel:DWORD dst_unused:UNUSED_PAD src0_sel:DWORD src1_sel:WORD_1
	v_fma_f16 v42, v39, v26, -v42
	;; [unrolled: 5-line block ×8, first 2 shown]
	v_fma_f16 v103, v45, v91, -v99
	v_mul_f16_sdwa v45, v45, v91 dst_sel:DWORD dst_unused:UNUSED_PAD src0_sel:DWORD src1_sel:WORD_1
	v_fma_f16 v43, v43, v91, v45
	v_add_f16_e32 v45, v44, v100
	v_add_f16_e32 v99, v40, v102
	v_fma_f16 v45, v45, -0.5, v105
	v_fma_f16 v104, v99, -0.5, v105
	v_lshrrev_b32_e32 v106, 16, v105
	v_add_f16_e32 v99, v105, v40
	v_sub_f16_e32 v105, v40, v44
	v_sub_f16_e32 v107, v102, v100
	v_add_f16_e32 v105, v105, v107
	v_sub_f16_e32 v107, v37, v32
	v_sub_f16_e32 v108, v36, v34
	;; [unrolled: 3-line block ×4, first 2 shown]
	v_add_f16_e32 v114, v39, v41
	v_add_f16_e32 v109, v109, v110
	;; [unrolled: 1-line block ×3, first 2 shown]
	v_fma_f16 v114, v114, -0.5, v33
	v_sub_f16_e32 v115, v42, v103
	v_fma_f16 v110, v110, -0.5, v35
	v_sub_f16_e32 v111, v38, v43
	v_fma_f16 v116, v115, s7, v114
	v_sub_f16_e32 v117, v98, v101
	v_fma_f16 v112, v111, s1, v110
	;; [unrolled: 2-line block ×3, first 2 shown]
	v_fma_f16 v112, v113, s0, v112
	v_fma_f16 v116, v109, s6, v116
	v_add_f16_e32 v97, v99, v44
	v_add_f16_e32 v99, v106, v37
	v_fma_f16 v112, v108, s6, v112
	v_mul_f16_e32 v118, 0x38b4, v116
	v_add_f16_e32 v99, v99, v32
	v_fma_f16 v118, v112, s13, v118
	v_mul_f16_e32 v112, 0xb8b4, v112
	v_add_f16_e32 v99, v99, v34
	v_fma_f16 v112, v116, s13, v112
	v_add_f16_e32 v116, v99, v36
	v_add_f16_e32 v99, v35, v42
	;; [unrolled: 1-line block ×13, first 2 shown]
	v_sub_f16_e32 v122, v37, v36
	v_pack_b32_f16 v121, v99, v121
	v_fma_f16 v99, v122, s1, v45
	v_sub_f16_e32 v123, v32, v34
	v_fma_f16 v99, v123, s0, v99
	v_fma_f16 v124, v105, s6, v99
	v_add_f16_e32 v99, v32, v34
	ds_write2_b32 v92, v126, v135 offset1:100
	v_fma_f16 v125, v99, -0.5, v106
	v_sub_f16_e32 v126, v40, v102
	v_fma_f16 v99, v126, s7, v125
	v_sub_f16_e32 v127, v44, v100
	v_fma_f16 v99, v127, s12, v99
	v_fma_f16 v128, v107, s6, v99
	v_add_f16_e32 v99, v124, v118
	v_add_f16_e32 v129, v128, v112
	v_sub_f16_e32 v40, v44, v40
	v_sub_f16_e32 v44, v100, v102
	v_pack_b32_f16 v129, v99, v129
	v_lshlrev_b32_e32 v99, 2, v46
	v_add_f16_e32 v40, v40, v44
	v_fma_f16 v44, v123, s7, v104
	v_fma_f16 v46, v123, s1, v104
	v_fma_f16 v44, v122, s0, v44
	v_fma_f16 v46, v122, s12, v46
	v_fma_f16 v44, v40, s6, v44
	v_fma_f16 v40, v40, s6, v46
	v_add_f16_e32 v46, v37, v36
	v_fma_f16 v46, v46, -0.5, v106
	v_sub_f16_e32 v32, v32, v37
	v_sub_f16_e32 v34, v34, v36
	v_add_f16_e32 v32, v32, v34
	v_fma_f16 v34, v127, s1, v46
	v_fma_f16 v36, v127, s7, v46
	v_fma_f16 v34, v126, s12, v34
	v_fma_f16 v36, v126, s0, v36
	v_fma_f16 v34, v32, s6, v34
	v_fma_f16 v32, v32, s6, v36
	v_add_f16_e32 v36, v42, v103
	v_fma_f16 v35, v36, -0.5, v35
	v_sub_f16_e32 v36, v98, v42
	v_sub_f16_e32 v37, v101, v103
	;; [unrolled: 11-line block ×3, first 2 shown]
	v_add_f16_e32 v36, v36, v38
	v_fma_f16 v38, v117, s1, v33
	v_fma_f16 v38, v115, s12, v38
	v_fma_f16 v33, v117, s7, v33
	v_fma_f16 v38, v36, s6, v38
	v_fma_f16 v33, v115, s0, v33
	v_fma_f16 v33, v36, s6, v33
	v_mul_f16_e32 v36, 0x3b9c, v38
	v_fma_f16 v36, v37, s6, v36
	v_mul_f16_e32 v37, 0xbb9c, v37
	v_fma_f16 v37, v38, s6, v37
	;; [unrolled: 2-line block ×4, first 2 shown]
	v_add_f16_e32 v35, v44, v36
	v_add_f16_e32 v39, v34, v37
	v_pack_b32_f16 v35, v35, v39
	v_add_f16_e32 v39, v40, v38
	v_add_f16_e32 v41, v32, v33
	v_pack_b32_f16 v39, v39, v41
	v_fma_f16 v41, v111, s7, v110
	v_fma_f16 v41, v113, s12, v41
	v_fma_f16 v42, v115, s1, v114
	v_add_u32_e32 v98, 0x200, v99
	v_fma_f16 v41, v108, s6, v41
	v_fma_f16 v42, v117, s0, v42
	ds_write2_b32 v98, v35, v39 offset0:72 offset1:172
	v_fma_f16 v35, v122, s7, v45
	v_fma_f16 v39, v126, s1, v125
	;; [unrolled: 1-line block ×3, first 2 shown]
	v_mul_f16_e32 v43, 0xba79, v41
	v_fma_f16 v35, v123, s12, v35
	v_fma_f16 v39, v127, s0, v39
	;; [unrolled: 1-line block ×3, first 2 shown]
	v_mul_f16_e32 v42, 0xba79, v42
	v_fma_f16 v35, v105, s6, v35
	v_fma_f16 v39, v107, s6, v39
	;; [unrolled: 1-line block ×3, first 2 shown]
	v_sub_f16_e32 v42, v97, v119
	v_sub_f16_e32 v45, v116, v120
	v_add_f16_e32 v46, v35, v43
	v_add_f16_e32 v97, v39, v41
	v_pack_b32_f16 v46, v46, v97
	v_pack_b32_f16 v42, v42, v45
	v_add_u32_e32 v100, 0x400, v99
	ds_write2_b32 v100, v46, v42 offset0:144 offset1:244
	v_sub_f16_e32 v42, v124, v118
	v_sub_f16_e32 v36, v44, v36
	;; [unrolled: 1-line block ×4, first 2 shown]
	v_pack_b32_f16 v37, v42, v44
	v_pack_b32_f16 v34, v36, v34
	v_add_u32_e32 v97, 0x800, v99
	ds_write2_b32 v97, v37, v34 offset0:88 offset1:188
	v_sub_f16_e32 v34, v40, v38
	v_sub_f16_e32 v32, v32, v33
	v_sub_f16_e32 v33, v39, v41
	v_mad_u64_u32 v[38:39], s[2:3], v74, 12, s[2:3]
	v_sub_f16_e32 v35, v35, v43
	v_pack_b32_f16 v32, v34, v32
	v_pack_b32_f16 v33, v35, v33
	v_add_u32_e32 v101, 0xc00, v99
	ds_write2_b32 v99, v121, v129 offset1:100
	ds_write2_b32 v101, v32, v33 offset0:32 offset1:132
	s_waitcnt lgkmcnt(0)
	s_barrier
	global_load_dwordx3 v[32:34], v[38:39], off offset:3960
	v_add_co_u32_e32 v35, vcc, s14, v38
	v_addc_co_u32_e32 v36, vcc, 0, v39, vcc
	global_load_dwordx3 v[35:37], v[35:36], off offset:2264
	v_add_co_u32_e32 v41, vcc, s15, v38
	v_addc_co_u32_e32 v42, vcc, 0, v39, vcc
	v_add_co_u32_e32 v45, vcc, s16, v38
	v_addc_co_u32_e32 v46, vcc, 0, v39, vcc
	global_load_dwordx3 v[38:40], v[41:42], off offset:568
	ds_read2_b32 v[43:44], v78 offset0:16 offset1:216
	ds_read2_b32 v[106:107], v70 offset0:48 offset1:248
	s_movk_i32 s2, 0x3e80
	s_mov_b32 s3, 0xba79
	s_waitcnt lgkmcnt(1)
	v_lshrrev_b32_e32 v102, 16, v43
	v_lshrrev_b32_e32 v104, 16, v44
	s_waitcnt vmcnt(2)
	v_mul_f16_sdwa v103, v43, v33 dst_sel:DWORD dst_unused:UNUSED_PAD src0_sel:DWORD src1_sel:WORD_1
	v_fma_f16 v108, v102, v33, v103
	v_mul_f16_sdwa v102, v102, v33 dst_sel:DWORD dst_unused:UNUSED_PAD src0_sel:DWORD src1_sel:WORD_1
	v_fma_f16 v43, v43, v33, -v102
	ds_read2_b32 v[102:103], v76 offset1:200
	s_waitcnt vmcnt(1)
	v_mul_f16_sdwa v105, v104, v36 dst_sel:DWORD dst_unused:UNUSED_PAD src0_sel:DWORD src1_sel:WORD_1
	v_fma_f16 v105, v44, v36, -v105
	v_mul_f16_sdwa v44, v44, v36 dst_sel:DWORD dst_unused:UNUSED_PAD src0_sel:DWORD src1_sel:WORD_1
	v_fma_f16 v44, v104, v36, v44
	s_waitcnt lgkmcnt(0)
	v_sub_f16_e32 v117, v103, v105
	ds_read2_b32 v[104:105], v80 offset0:32 offset1:232
	v_lshrrev_b32_e32 v118, 16, v103
	v_fma_f16 v119, v103, 2.0, -v117
	v_mul_f16_sdwa v111, v107, v34 dst_sel:DWORD dst_unused:UNUSED_PAD src0_sel:DWORD src1_sel:WORD_1
	v_sub_f16_e32 v109, v102, v43
	s_waitcnt lgkmcnt(0)
	v_lshrrev_b32_e32 v103, 16, v105
	v_mul_f16_sdwa v110, v105, v32 dst_sel:DWORD dst_unused:UNUSED_PAD src0_sel:DWORD src1_sel:WORD_1
	v_fma_f16 v110, v103, v32, v110
	v_mul_f16_sdwa v103, v103, v32 dst_sel:DWORD dst_unused:UNUSED_PAD src0_sel:DWORD src1_sel:WORD_1
	v_fma_f16 v103, v105, v32, -v103
	v_lshrrev_b32_e32 v105, 16, v107
	v_fma_f16 v111, v105, v34, v111
	v_mul_f16_sdwa v105, v105, v34 dst_sel:DWORD dst_unused:UNUSED_PAD src0_sel:DWORD src1_sel:WORD_1
	v_lshrrev_b32_e32 v43, 16, v102
	v_fma_f16 v105, v107, v34, -v105
	v_sub_f16_e32 v107, v43, v108
	v_sub_f16_e32 v105, v103, v105
	;; [unrolled: 1-line block ×3, first 2 shown]
	v_fma_f16 v102, v102, 2.0, -v109
	v_fma_f16 v108, v43, 2.0, -v107
	;; [unrolled: 1-line block ×4, first 2 shown]
	v_sub_f16_e32 v120, v102, v43
	v_sub_f16_e32 v121, v108, v103
	v_fma_f16 v102, v102, 2.0, -v120
	v_fma_f16 v103, v108, 2.0, -v121
	v_sub_f16_e32 v123, v109, v111
	v_add_f16_e32 v105, v107, v105
	global_load_dwordx3 v[41:43], v[41:42], off offset:2968
	v_pack_b32_f16 v122, v102, v103
	v_fma_f16 v102, v109, 2.0, -v123
	v_fma_f16 v103, v107, 2.0, -v105
	v_pack_b32_f16 v120, v120, v121
	v_pack_b32_f16 v105, v123, v105
	;; [unrolled: 1-line block ×3, first 2 shown]
	ds_read2_b32 v[102:103], v79 offset0:48 offset1:248
	ds_read2_b32 v[107:108], v68 offset1:200
	ds_read2_b32 v[109:110], v81 offset0:16 offset1:216
	ds_read2_b32 v[111:112], v72 offset0:32 offset1:232
	ds_read2_b32 v[113:114], v77 offset1:200
	ds_read2_b32 v[115:116], v66 offset0:16 offset1:216
	ds_write_b32 v76, v120 offset:8000
	ds_write_b32 v76, v105 offset:12000
	s_waitcnt lgkmcnt(7)
	v_lshrrev_b32_e32 v105, 16, v102
	v_mul_f16_sdwa v120, v102, v35 dst_sel:DWORD dst_unused:UNUSED_PAD src0_sel:DWORD src1_sel:WORD_1
	v_fma_f16 v120, v105, v35, v120
	v_mul_f16_sdwa v105, v105, v35 dst_sel:DWORD dst_unused:UNUSED_PAD src0_sel:DWORD src1_sel:WORD_1
	v_fma_f16 v102, v102, v35, -v105
	s_waitcnt lgkmcnt(6)
	v_lshrrev_b32_e32 v105, 16, v107
	v_mul_f16_sdwa v121, v107, v37 dst_sel:DWORD dst_unused:UNUSED_PAD src0_sel:DWORD src1_sel:WORD_1
	v_fma_f16 v121, v105, v37, v121
	v_mul_f16_sdwa v105, v105, v37 dst_sel:DWORD dst_unused:UNUSED_PAD src0_sel:DWORD src1_sel:WORD_1
	v_fma_f16 v105, v107, v37, -v105
	v_sub_f16_e32 v107, v118, v44
	v_fma_f16 v44, v118, 2.0, -v107
	v_sub_f16_e32 v105, v102, v105
	v_sub_f16_e32 v118, v120, v121
	v_fma_f16 v102, v102, 2.0, -v105
	v_fma_f16 v120, v120, 2.0, -v118
	v_sub_f16_e32 v102, v119, v102
	v_sub_f16_e32 v120, v44, v120
	v_fma_f16 v119, v119, 2.0, -v102
	v_fma_f16 v44, v44, 2.0, -v120
	v_pack_b32_f16 v44, v119, v44
	ds_write_b32 v76, v124 offset:4000
	ds_write2_b32 v76, v122, v44 offset1:200
	v_lshrrev_b32_e32 v44, 16, v103
	s_waitcnt vmcnt(1)
	v_mul_f16_sdwa v119, v44, v38 dst_sel:DWORD dst_unused:UNUSED_PAD src0_sel:DWORD src1_sel:WORD_1
	v_fma_f16 v119, v103, v38, -v119
	v_mul_f16_sdwa v103, v103, v38 dst_sel:DWORD dst_unused:UNUSED_PAD src0_sel:DWORD src1_sel:WORD_1
	v_fma_f16 v103, v44, v38, v103
	global_load_dwordx3 v[44:46], v[45:46], off offset:1272
	v_sub_f16_e32 v118, v117, v118
	v_add_f16_e32 v105, v107, v105
	v_pack_b32_f16 v102, v102, v120
	v_lshrrev_b32_e32 v121, 16, v108
	ds_write_b32 v76, v102 offset:8800
	v_pack_b32_f16 v102, v118, v105
	v_mul_f16_sdwa v122, v121, v40 dst_sel:DWORD dst_unused:UNUSED_PAD src0_sel:DWORD src1_sel:WORD_1
	v_fma_f16 v107, v107, 2.0, -v105
	ds_write_b32 v76, v102 offset:12800
	s_waitcnt lgkmcnt(8)
	v_lshrrev_b32_e32 v102, 16, v111
	v_mul_f16_sdwa v105, v111, v39 dst_sel:DWORD dst_unused:UNUSED_PAD src0_sel:DWORD src1_sel:WORD_1
	v_fma_f16 v122, v108, v40, -v122
	v_mul_f16_sdwa v108, v108, v40 dst_sel:DWORD dst_unused:UNUSED_PAD src0_sel:DWORD src1_sel:WORD_1
	v_fma_f16 v105, v102, v39, v105
	v_mul_f16_sdwa v102, v102, v39 dst_sel:DWORD dst_unused:UNUSED_PAD src0_sel:DWORD src1_sel:WORD_1
	v_fma_f16 v108, v121, v40, v108
	v_fma_f16 v117, v117, 2.0, -v118
	v_fma_f16 v102, v111, v39, -v102
	v_lshrrev_b32_e32 v111, 16, v109
	v_pack_b32_f16 v107, v117, v107
	v_sub_f16_e32 v102, v109, v102
	v_sub_f16_e32 v105, v111, v105
	;; [unrolled: 1-line block ×5, first 2 shown]
	v_add_f16_e32 v120, v105, v117
	v_fma_f16 v121, v102, 2.0, -v118
	v_fma_f16 v122, v105, 2.0, -v120
	v_pack_b32_f16 v121, v121, v122
	ds_write2_b32 v79, v107, v121 offset0:48 offset1:248
	v_lshrrev_b32_e32 v107, 16, v112
	v_fma_f16 v105, v111, 2.0, -v105
	v_fma_f16 v111, v119, 2.0, -v117
	;; [unrolled: 1-line block ×4, first 2 shown]
	v_sub_f16_e32 v111, v102, v111
	v_sub_f16_e32 v103, v105, v103
	v_fma_f16 v102, v102, 2.0, -v111
	v_fma_f16 v105, v105, 2.0, -v103
	v_pack_b32_f16 v102, v102, v105
	s_waitcnt lgkmcnt(8)
	v_lshrrev_b32_e32 v105, 16, v113
	s_waitcnt vmcnt(1)
	v_mul_f16_sdwa v121, v107, v42 dst_sel:DWORD dst_unused:UNUSED_PAD src0_sel:DWORD src1_sel:WORD_1
	v_fma_f16 v121, v112, v42, -v121
	v_mul_f16_sdwa v112, v112, v42 dst_sel:DWORD dst_unused:UNUSED_PAD src0_sel:DWORD src1_sel:WORD_1
	v_fma_f16 v107, v107, v42, v112
	v_mul_f16_sdwa v112, v113, v41 dst_sel:DWORD dst_unused:UNUSED_PAD src0_sel:DWORD src1_sel:WORD_1
	v_fma_f16 v112, v105, v41, v112
	v_mul_f16_sdwa v105, v105, v41 dst_sel:DWORD dst_unused:UNUSED_PAD src0_sel:DWORD src1_sel:WORD_1
	v_fma_f16 v105, v113, v41, -v105
	s_waitcnt lgkmcnt(7)
	v_lshrrev_b32_e32 v113, 16, v115
	v_mul_f16_sdwa v117, v115, v43 dst_sel:DWORD dst_unused:UNUSED_PAD src0_sel:DWORD src1_sel:WORD_1
	v_fma_f16 v117, v113, v43, v117
	v_mul_f16_sdwa v113, v113, v43 dst_sel:DWORD dst_unused:UNUSED_PAD src0_sel:DWORD src1_sel:WORD_1
	v_lshrrev_b32_e32 v109, 16, v110
	v_fma_f16 v113, v115, v43, -v113
	v_sub_f16_e32 v108, v110, v121
	v_sub_f16_e32 v107, v109, v107
	;; [unrolled: 1-line block ×4, first 2 shown]
	v_fma_f16 v110, v110, 2.0, -v108
	v_fma_f16 v109, v109, 2.0, -v107
	;; [unrolled: 1-line block ×4, first 2 shown]
	v_sub_f16_e32 v105, v110, v105
	v_sub_f16_e32 v112, v109, v112
	v_fma_f16 v110, v110, 2.0, -v105
	v_fma_f16 v109, v109, 2.0, -v112
	v_pack_b32_f16 v109, v110, v109
	ds_write2_b32 v81, v102, v109 offset0:16 offset1:216
	v_pack_b32_f16 v102, v111, v103
	v_pack_b32_f16 v103, v105, v112
	v_sub_f16_e32 v105, v108, v115
	v_add_f16_e32 v109, v107, v113
	ds_write2_b32 v72, v102, v103 offset0:32 offset1:232
	v_pack_b32_f16 v103, v118, v120
	v_pack_b32_f16 v110, v105, v109
	v_add_u32_e32 v102, 0x3500, v76
	ds_write2_b32 v102, v103, v110 offset0:8 offset1:208
	v_lshrrev_b32_e32 v103, 16, v114
	s_waitcnt vmcnt(0)
	v_mul_f16_sdwa v111, v114, v44 dst_sel:DWORD dst_unused:UNUSED_PAD src0_sel:DWORD src1_sel:WORD_1
	v_mul_f16_sdwa v110, v103, v44 dst_sel:DWORD dst_unused:UNUSED_PAD src0_sel:DWORD src1_sel:WORD_1
	v_fma_f16 v103, v103, v44, v111
	v_lshrrev_b32_e32 v111, 16, v106
	v_mul_f16_sdwa v112, v111, v45 dst_sel:DWORD dst_unused:UNUSED_PAD src0_sel:DWORD src1_sel:WORD_1
	v_fma_f16 v112, v106, v45, -v112
	v_mul_f16_sdwa v106, v106, v45 dst_sel:DWORD dst_unused:UNUSED_PAD src0_sel:DWORD src1_sel:WORD_1
	v_fma_f16 v106, v111, v45, v106
	v_lshrrev_b32_e32 v111, 16, v116
	v_fma_f16 v110, v114, v44, -v110
	v_mul_f16_sdwa v113, v111, v46 dst_sel:DWORD dst_unused:UNUSED_PAD src0_sel:DWORD src1_sel:WORD_1
	v_mul_f16_sdwa v114, v116, v46 dst_sel:DWORD dst_unused:UNUSED_PAD src0_sel:DWORD src1_sel:WORD_1
	v_fma_f16 v113, v116, v46, -v113
	v_fma_f16 v111, v111, v46, v114
	v_fma_f16 v105, v108, 2.0, -v105
	v_fma_f16 v107, v107, 2.0, -v109
	v_lshrrev_b32_e32 v109, 16, v104
	v_sub_f16_e32 v108, v104, v112
	v_pack_b32_f16 v105, v105, v107
	v_sub_f16_e32 v106, v109, v106
	v_sub_f16_e32 v107, v110, v113
	;; [unrolled: 1-line block ×4, first 2 shown]
	v_add_f16_e32 v113, v106, v107
	v_fma_f16 v104, v104, 2.0, -v108
	v_fma_f16 v108, v108, 2.0, -v112
	;; [unrolled: 1-line block ×3, first 2 shown]
	v_pack_b32_f16 v108, v108, v114
	ds_write2_b32 v77, v105, v108 offset1:200
	v_fma_f16 v105, v109, 2.0, -v106
	v_fma_f16 v106, v110, 2.0, -v107
	v_fma_f16 v103, v103, 2.0, -v111
	v_sub_f16_e32 v106, v104, v106
	v_sub_f16_e32 v103, v105, v103
	v_fma_f16 v104, v104, 2.0, -v106
	v_fma_f16 v105, v105, 2.0, -v103
	v_pack_b32_f16 v103, v106, v103
	v_pack_b32_f16 v104, v104, v105
	ds_write_b32 v76, v103 offset:11200
	v_pack_b32_f16 v103, v112, v113
	ds_write_b32 v76, v104 offset:3200
	ds_write_b32 v76, v103 offset:15200
	s_waitcnt lgkmcnt(0)
	s_barrier
	global_load_dword v105, v[48:49], off offset:3712
	v_add_co_u32_e32 v48, vcc, s2, v82
	v_addc_co_u32_e32 v49, vcc, 0, v83, vcc
	global_load_dword v107, v[48:49], off offset:800
	global_load_dword v108, v[48:49], off offset:1600
	;; [unrolled: 1-line block ×5, first 2 shown]
	s_movk_i32 s2, 0x5000
	v_add_co_u32_e32 v48, vcc, s2, v82
	v_addc_co_u32_e32 v49, vcc, 0, v83, vcc
	global_load_dword v112, v[48:49], off offset:320
	global_load_dword v113, v[48:49], off offset:1120
	;; [unrolled: 1-line block ×3, first 2 shown]
	ds_read2_b32 v[103:104], v76 offset1:200
	s_movk_i32 s2, 0x6000
	s_waitcnt lgkmcnt(0)
	v_lshrrev_b32_e32 v106, 16, v103
	v_lshrrev_b32_e32 v116, 16, v104
	s_waitcnt vmcnt(8)
	v_mul_f16_sdwa v115, v103, v105 dst_sel:DWORD dst_unused:UNUSED_PAD src0_sel:DWORD src1_sel:WORD_1
	v_fma_f16 v115, v106, v105, v115
	v_mul_f16_sdwa v106, v106, v105 dst_sel:DWORD dst_unused:UNUSED_PAD src0_sel:DWORD src1_sel:WORD_1
	v_fma_f16 v103, v103, v105, -v106
	v_pack_b32_f16 v103, v103, v115
	global_load_dword v115, v[48:49], off offset:2720
	ds_write_b32 v76, v103
	s_waitcnt vmcnt(8)
	v_mul_f16_sdwa v117, v116, v107 dst_sel:DWORD dst_unused:UNUSED_PAD src0_sel:DWORD src1_sel:WORD_1
	ds_read2_b32 v[105:106], v81 offset0:16 offset1:216
	v_fma_f16 v103, v104, v107, -v117
	v_mul_f16_sdwa v104, v104, v107 dst_sel:DWORD dst_unused:UNUSED_PAD src0_sel:DWORD src1_sel:WORD_1
	v_fma_f16 v104, v116, v107, v104
	global_load_dword v116, v[48:49], off offset:3520
	s_waitcnt lgkmcnt(0)
	v_lshrrev_b32_e32 v107, 16, v105
	s_waitcnt vmcnt(8)
	v_mul_f16_sdwa v48, v105, v108 dst_sel:DWORD dst_unused:UNUSED_PAD src0_sel:DWORD src1_sel:WORD_1
	v_fma_f16 v117, v107, v108, v48
	v_mul_f16_sdwa v48, v107, v108 dst_sel:DWORD dst_unused:UNUSED_PAD src0_sel:DWORD src1_sel:WORD_1
	v_fma_f16 v105, v105, v108, -v48
	v_add_co_u32_e32 v48, vcc, s2, v82
	v_addc_co_u32_e32 v49, vcc, 0, v83, vcc
	global_load_dword v107, v[48:49], off offset:224
	v_pack_b32_f16 v105, v105, v117
	v_pack_b32_f16 v103, v103, v104
	v_add_u32_e32 v104, 0x300, v76
	ds_write2_b32 v104, v103, v105 offset0:8 offset1:208
	global_load_dword v105, v[48:49], off offset:1024
	global_load_dword v118, v[48:49], off offset:1824
	ds_read2_b32 v[103:104], v80 offset0:32 offset1:232
	v_lshrrev_b32_e32 v108, 16, v106
	s_waitcnt vmcnt(10)
	v_mul_f16_sdwa v117, v108, v109 dst_sel:DWORD dst_unused:UNUSED_PAD src0_sel:DWORD src1_sel:WORD_1
	v_fma_f16 v117, v106, v109, -v117
	v_mul_f16_sdwa v106, v106, v109 dst_sel:DWORD dst_unused:UNUSED_PAD src0_sel:DWORD src1_sel:WORD_1
	v_fma_f16 v106, v108, v109, v106
	s_waitcnt lgkmcnt(0)
	v_lshrrev_b32_e32 v108, 16, v103
	s_waitcnt vmcnt(9)
	v_mul_f16_sdwa v109, v103, v110 dst_sel:DWORD dst_unused:UNUSED_PAD src0_sel:DWORD src1_sel:WORD_1
	v_fma_f16 v109, v108, v110, v109
	v_mul_f16_sdwa v108, v108, v110 dst_sel:DWORD dst_unused:UNUSED_PAD src0_sel:DWORD src1_sel:WORD_1
	v_fma_f16 v103, v103, v110, -v108
	global_load_dword v108, v[48:49], off offset:2624
	v_pack_b32_f16 v103, v103, v109
	v_pack_b32_f16 v106, v117, v106
	v_add_u32_e32 v109, 0x900, v76
	ds_write2_b32 v109, v106, v103 offset0:24 offset1:224
	v_lshrrev_b32_e32 v106, 16, v104
	s_waitcnt vmcnt(9)
	v_mul_f16_sdwa v103, v106, v111 dst_sel:DWORD dst_unused:UNUSED_PAD src0_sel:DWORD src1_sel:WORD_1
	v_mul_f16_sdwa v110, v104, v111 dst_sel:DWORD dst_unused:UNUSED_PAD src0_sel:DWORD src1_sel:WORD_1
	s_movk_i32 s2, 0x7000
	v_fma_f16 v109, v104, v111, -v103
	ds_read2_b32 v[103:104], v79 offset0:48 offset1:248
	v_fma_f16 v106, v106, v111, v110
	global_load_dword v110, v[48:49], off offset:3424
	v_add_co_u32_e32 v48, vcc, s2, v82
	v_addc_co_u32_e32 v49, vcc, 0, v83, vcc
	global_load_dword v111, v[48:49], off offset:128
	s_waitcnt lgkmcnt(0)
	v_lshrrev_b32_e32 v82, 16, v103
	s_waitcnt vmcnt(10)
	v_mul_f16_sdwa v83, v103, v112 dst_sel:DWORD dst_unused:UNUSED_PAD src0_sel:DWORD src1_sel:WORD_1
	v_fma_f16 v83, v82, v112, v83
	v_mul_f16_sdwa v82, v82, v112 dst_sel:DWORD dst_unused:UNUSED_PAD src0_sel:DWORD src1_sel:WORD_1
	v_fma_f16 v82, v103, v112, -v82
	v_pack_b32_f16 v82, v82, v83
	v_pack_b32_f16 v83, v109, v106
	v_add_u32_e32 v103, 0xf00, v76
	ds_write2_b32 v103, v83, v82 offset0:40 offset1:240
	global_load_dword v103, v[48:49], off offset:928
	global_load_dword v112, v[48:49], off offset:1728
	ds_read2_b32 v[82:83], v77 offset1:200
	v_lshrrev_b32_e32 v106, 16, v104
	s_waitcnt vmcnt(11)
	v_mul_f16_sdwa v109, v106, v113 dst_sel:DWORD dst_unused:UNUSED_PAD src0_sel:DWORD src1_sel:WORD_1
	v_fma_f16 v109, v104, v113, -v109
	v_mul_f16_sdwa v104, v104, v113 dst_sel:DWORD dst_unused:UNUSED_PAD src0_sel:DWORD src1_sel:WORD_1
	v_fma_f16 v104, v106, v113, v104
	s_waitcnt lgkmcnt(0)
	v_lshrrev_b32_e32 v106, 16, v82
	s_waitcnt vmcnt(10)
	v_mul_f16_sdwa v113, v82, v114 dst_sel:DWORD dst_unused:UNUSED_PAD src0_sel:DWORD src1_sel:WORD_1
	v_fma_f16 v113, v106, v114, v113
	v_mul_f16_sdwa v106, v106, v114 dst_sel:DWORD dst_unused:UNUSED_PAD src0_sel:DWORD src1_sel:WORD_1
	v_fma_f16 v82, v82, v114, -v106
	global_load_dword v106, v[48:49], off offset:2528
	v_pack_b32_f16 v48, v82, v113
	v_pack_b32_f16 v49, v109, v104
	v_add_u32_e32 v82, 0x1580, v76
	ds_write2_b32 v82, v49, v48 offset0:24 offset1:224
	ds_read2_b32 v[48:49], v78 offset0:16 offset1:216
	v_lshrrev_b32_e32 v82, 16, v83
	s_waitcnt vmcnt(10)
	v_mul_f16_sdwa v104, v82, v115 dst_sel:DWORD dst_unused:UNUSED_PAD src0_sel:DWORD src1_sel:WORD_1
	v_fma_f16 v104, v83, v115, -v104
	v_mul_f16_sdwa v83, v83, v115 dst_sel:DWORD dst_unused:UNUSED_PAD src0_sel:DWORD src1_sel:WORD_1
	v_fma_f16 v82, v82, v115, v83
	s_waitcnt lgkmcnt(0)
	v_lshrrev_b32_e32 v83, 16, v48
	s_waitcnt vmcnt(9)
	v_mul_f16_sdwa v109, v48, v116 dst_sel:DWORD dst_unused:UNUSED_PAD src0_sel:DWORD src1_sel:WORD_1
	v_fma_f16 v109, v83, v116, v109
	v_mul_f16_sdwa v83, v83, v116 dst_sel:DWORD dst_unused:UNUSED_PAD src0_sel:DWORD src1_sel:WORD_1
	v_fma_f16 v48, v48, v116, -v83
	v_pack_b32_f16 v48, v48, v109
	v_pack_b32_f16 v82, v104, v82
	v_add_u32_e32 v83, 0x1c00, v76
	ds_write2_b32 v83, v82, v48 offset0:8 offset1:208
	ds_read2_b32 v[82:83], v72 offset0:32 offset1:232
	v_lshrrev_b32_e32 v48, 16, v49
	s_waitcnt vmcnt(8)
	v_mul_f16_sdwa v104, v48, v107 dst_sel:DWORD dst_unused:UNUSED_PAD src0_sel:DWORD src1_sel:WORD_1
	v_fma_f16 v104, v49, v107, -v104
	v_mul_f16_sdwa v49, v49, v107 dst_sel:DWORD dst_unused:UNUSED_PAD src0_sel:DWORD src1_sel:WORD_1
	v_fma_f16 v48, v48, v107, v49
	s_waitcnt lgkmcnt(0)
	v_lshrrev_b32_e32 v49, 16, v82
	s_waitcnt vmcnt(7)
	v_mul_f16_sdwa v107, v82, v105 dst_sel:DWORD dst_unused:UNUSED_PAD src0_sel:DWORD src1_sel:WORD_1
	v_fma_f16 v107, v49, v105, v107
	v_mul_f16_sdwa v49, v49, v105 dst_sel:DWORD dst_unused:UNUSED_PAD src0_sel:DWORD src1_sel:WORD_1
	v_fma_f16 v49, v82, v105, -v49
	;; [unrolled: 18-line block ×3, first 2 shown]
	v_pack_b32_f16 v48, v48, v105
	v_pack_b32_f16 v82, v104, v82
	v_add_u32_e32 v83, 0x2800, v76
	ds_write2_b32 v83, v82, v48 offset0:40 offset1:240
	ds_read2_b32 v[82:83], v68 offset1:200
	v_lshrrev_b32_e32 v48, 16, v49
	s_waitcnt vmcnt(4)
	v_mul_f16_sdwa v104, v48, v110 dst_sel:DWORD dst_unused:UNUSED_PAD src0_sel:DWORD src1_sel:WORD_1
	v_fma_f16 v104, v49, v110, -v104
	v_mul_f16_sdwa v49, v49, v110 dst_sel:DWORD dst_unused:UNUSED_PAD src0_sel:DWORD src1_sel:WORD_1
	v_fma_f16 v48, v48, v110, v49
	s_waitcnt lgkmcnt(0)
	v_lshrrev_b32_e32 v49, 16, v82
	s_waitcnt vmcnt(3)
	v_mul_f16_sdwa v105, v82, v111 dst_sel:DWORD dst_unused:UNUSED_PAD src0_sel:DWORD src1_sel:WORD_1
	v_fma_f16 v105, v49, v111, v105
	v_mul_f16_sdwa v49, v49, v111 dst_sel:DWORD dst_unused:UNUSED_PAD src0_sel:DWORD src1_sel:WORD_1
	v_fma_f16 v49, v82, v111, -v49
	v_pack_b32_f16 v49, v49, v105
	v_pack_b32_f16 v48, v104, v48
	v_add_u32_e32 v82, 0x2e80, v76
	ds_write2_b32 v82, v48, v49 offset0:24 offset1:224
	ds_read2_b32 v[48:49], v66 offset0:16 offset1:216
	v_lshrrev_b32_e32 v82, 16, v83
	s_waitcnt vmcnt(2)
	v_mul_f16_sdwa v104, v82, v103 dst_sel:DWORD dst_unused:UNUSED_PAD src0_sel:DWORD src1_sel:WORD_1
	v_fma_f16 v104, v83, v103, -v104
	v_mul_f16_sdwa v83, v83, v103 dst_sel:DWORD dst_unused:UNUSED_PAD src0_sel:DWORD src1_sel:WORD_1
	v_fma_f16 v82, v82, v103, v83
	s_waitcnt lgkmcnt(0)
	v_lshrrev_b32_e32 v83, 16, v48
	s_waitcnt vmcnt(1)
	v_mul_f16_sdwa v103, v48, v112 dst_sel:DWORD dst_unused:UNUSED_PAD src0_sel:DWORD src1_sel:WORD_1
	v_fma_f16 v103, v83, v112, v103
	v_mul_f16_sdwa v83, v83, v112 dst_sel:DWORD dst_unused:UNUSED_PAD src0_sel:DWORD src1_sel:WORD_1
	v_fma_f16 v48, v48, v112, -v83
	v_pack_b32_f16 v48, v48, v103
	v_pack_b32_f16 v82, v104, v82
	ds_write2_b32 v102, v82, v48 offset0:8 offset1:208
	v_lshrrev_b32_e32 v48, 16, v49
	s_waitcnt vmcnt(0)
	v_mul_f16_sdwa v82, v48, v106 dst_sel:DWORD dst_unused:UNUSED_PAD src0_sel:DWORD src1_sel:WORD_1
	v_fma_f16 v82, v49, v106, -v82
	v_mul_f16_sdwa v49, v49, v106 dst_sel:DWORD dst_unused:UNUSED_PAD src0_sel:DWORD src1_sel:WORD_1
	v_fma_f16 v48, v48, v106, v49
	v_pack_b32_f16 v48, v82, v48
	ds_write_b32 v76, v48 offset:15200
	s_waitcnt lgkmcnt(0)
	s_barrier
	ds_read2_b32 v[48:49], v72 offset0:32 offset1:232
	ds_read2_b32 v[82:83], v68 offset1:200
	ds_read2_b32 v[103:104], v80 offset0:32 offset1:232
	ds_read2_b32 v[105:106], v77 offset1:200
	ds_read2_b32 v[107:108], v76 offset1:200
	s_mov_b32 s2, 0xb4f2
	s_waitcnt lgkmcnt(3)
	v_sub_f16_e32 v109, v48, v82
	s_waitcnt lgkmcnt(2)
	v_sub_f16_sdwa v123, v103, v82 dst_sel:DWORD dst_unused:UNUSED_PAD src0_sel:WORD_1 src1_sel:WORD_1
	s_waitcnt lgkmcnt(1)
	v_sub_f16_e32 v110, v105, v103
	v_add_f16_e32 v109, v110, v109
	v_add_f16_e32 v110, v103, v82
	s_waitcnt lgkmcnt(0)
	v_fma_f16 v110, v110, -0.5, v107
	v_sub_f16_sdwa v124, v105, v48 dst_sel:DWORD dst_unused:UNUSED_PAD src0_sel:WORD_1 src1_sel:WORD_1
	v_fma_f16 v111, v124, s1, v110
	v_fma_f16 v110, v124, s7, v110
	;; [unrolled: 1-line block ×6, first 2 shown]
	v_sub_f16_sdwa v109, v105, v103 dst_sel:DWORD dst_unused:UNUSED_PAD src0_sel:WORD_1 src1_sel:WORD_1
	v_sub_f16_sdwa v110, v48, v82 dst_sel:DWORD dst_unused:UNUSED_PAD src0_sel:WORD_1 src1_sel:WORD_1
	v_add_f16_e32 v117, v109, v110
	v_lshrrev_b32_e32 v121, 16, v107
	v_add_f16_sdwa v109, v103, v82 dst_sel:DWORD dst_unused:UNUSED_PAD src0_sel:WORD_1 src1_sel:WORD_1
	v_fma_f16 v109, v109, -0.5, v121
	v_sub_f16_e32 v128, v105, v48
	v_sub_f16_e32 v127, v103, v82
	v_fma_f16 v110, v128, s7, v109
	v_fma_f16 v110, v127, s0, v110
	v_fma_f16 v129, v117, s6, v110
	v_fma_f16 v118, v128, s1, v109
	ds_read2_b32 v[109:110], v70 offset0:48 offset1:248
	ds_read2_b32 v[111:112], v66 offset0:16 offset1:216
	;; [unrolled: 1-line block ×4, first 2 shown]
	v_fma_f16 v118, v127, s12, v118
	v_fma_f16 v130, v117, s6, v118
	ds_read2_b32 v[117:118], v81 offset0:16 offset1:216
	s_waitcnt lgkmcnt(3)
	v_sub_f16_e32 v119, v109, v111
	s_waitcnt lgkmcnt(1)
	v_sub_f16_e32 v120, v115, v113
	v_add_f16_e32 v119, v120, v119
	v_add_f16_e32 v120, v113, v111
	s_waitcnt lgkmcnt(0)
	v_fma_f16 v120, v120, -0.5, v117
	v_sub_f16_sdwa v132, v115, v109 dst_sel:DWORD dst_unused:UNUSED_PAD src0_sel:WORD_1 src1_sel:WORD_1
	v_sub_f16_sdwa v131, v113, v111 dst_sel:DWORD dst_unused:UNUSED_PAD src0_sel:WORD_1 src1_sel:WORD_1
	v_fma_f16 v122, v132, s1, v120
	v_fma_f16 v120, v132, s7, v120
	;; [unrolled: 1-line block ×6, first 2 shown]
	v_sub_f16_sdwa v120, v115, v113 dst_sel:DWORD dst_unused:UNUSED_PAD src0_sel:WORD_1 src1_sel:WORD_1
	v_sub_f16_sdwa v133, v109, v111 dst_sel:DWORD dst_unused:UNUSED_PAD src0_sel:WORD_1 src1_sel:WORD_1
	v_add_f16_e32 v120, v120, v133
	v_lshrrev_b32_e32 v133, 16, v117
	v_add_f16_sdwa v134, v113, v111 dst_sel:DWORD dst_unused:UNUSED_PAD src0_sel:WORD_1 src1_sel:WORD_1
	v_fma_f16 v134, v134, -0.5, v133
	v_sub_f16_e32 v136, v115, v109
	v_sub_f16_e32 v135, v113, v111
	v_fma_f16 v137, v136, s7, v134
	v_fma_f16 v137, v135, s0, v137
	;; [unrolled: 1-line block ×6, first 2 shown]
	v_mul_f16_e32 v134, 0xbb9c, v137
	v_mul_f16_e32 v137, 0x34f2, v137
	v_fma_f16 v134, v122, s6, v134
	v_fma_f16 v137, v122, s1, v137
	v_mul_f16_e32 v122, 0xbb9c, v120
	v_mul_f16_e32 v120, 0xb4f2, v120
	v_fma_f16 v138, v119, s2, v122
	v_fma_f16 v139, v119, s1, v120
	v_add_f16_e32 v119, v126, v138
	v_add_f16_e32 v120, v130, v139
	v_pack_b32_f16 v120, v119, v120
	v_add_f16_e32 v119, v125, v134
	v_add_f16_e32 v122, v129, v137
	v_pack_b32_f16 v119, v119, v122
	v_sub_f16_e32 v122, v82, v48
	v_sub_f16_e32 v140, v103, v105
	v_add_f16_e32 v140, v140, v122
	v_add_f16_sdwa v122, v105, v48 dst_sel:DWORD dst_unused:UNUSED_PAD src0_sel:WORD_1 src1_sel:WORD_1
	v_fma_f16 v141, v122, -0.5, v121
	v_sub_f16_sdwa v121, v103, v105 dst_sel:DWORD dst_unused:UNUSED_PAD src0_sel:WORD_1 src1_sel:WORD_1
	v_sub_f16_sdwa v122, v82, v48 dst_sel:DWORD dst_unused:UNUSED_PAD src0_sel:WORD_1 src1_sel:WORD_1
	v_add_f16_e32 v142, v121, v122
	v_sub_f16_e32 v121, v111, v109
	v_sub_f16_e32 v122, v113, v115
	v_add_f16_e32 v143, v122, v121
	v_add_f16_sdwa v121, v115, v109 dst_sel:DWORD dst_unused:UNUSED_PAD src0_sel:WORD_1 src1_sel:WORD_1
	v_fma_f16 v133, v121, -0.5, v133
	v_sub_f16_sdwa v121, v113, v115 dst_sel:DWORD dst_unused:UNUSED_PAD src0_sel:WORD_1 src1_sel:WORD_1
	v_sub_f16_sdwa v122, v111, v109 dst_sel:DWORD dst_unused:UNUSED_PAD src0_sel:WORD_1 src1_sel:WORD_1
	v_add_f16_e32 v144, v121, v122
	v_add_f16_e32 v121, v115, v109
	v_fma_f16 v145, v121, -0.5, v117
	v_fma_f16 v122, v135, s1, v133
	v_fma_f16 v121, v131, s7, v145
	;; [unrolled: 1-line block ×6, first 2 shown]
	v_mul_f16_e32 v146, 0xb8b4, v122
	v_fma_f16 v146, v121, s13, v146
	v_mul_f16_e32 v121, 0x38b4, v121
	v_pk_add_f16 v103, v107, v103
	v_fma_f16 v147, v122, s13, v121
	v_add_f16_e32 v121, v105, v48
	v_pk_add_f16 v103, v103, v105
	v_fma_f16 v148, v121, -0.5, v107
	v_pk_add_f16 v48, v103, v48
	v_fma_f16 v121, v123, s7, v148
	v_pk_add_f16 v48, v48, v82
	v_fma_f16 v82, v127, s1, v141
	;; [unrolled: 2-line block ×3, first 2 shown]
	v_fma_f16 v82, v128, s0, v82
	v_pk_add_f16 v103, v103, v115
	v_fma_f16 v149, v140, s6, v121
	v_fma_f16 v82, v142, s6, v82
	v_pk_add_f16 v103, v103, v109
	v_pk_add_f16 v103, v103, v111
	v_add_f16_e32 v105, v149, v146
	v_add_f16_e32 v107, v82, v147
	v_pack_b32_f16 v122, v105, v107
	v_pk_add_f16 v121, v48, v103
	v_sub_f16_e32 v107, v125, v134
	v_sub_f16_e32 v109, v129, v137
	s_barrier
	ds_write2_b64 v85, v[121:122], v[119:120] offset1:1
	v_pack_b32_f16 v120, v107, v109
	v_fma_f16 v109, v135, s7, v133
	v_sub_f16_e32 v105, v149, v146
	v_sub_f16_e32 v82, v82, v147
	v_fma_f16 v107, v131, s1, v145
	v_fma_f16 v109, v136, s12, v109
	v_pack_b32_f16 v119, v105, v82
	v_fma_f16 v82, v123, s1, v148
	v_fma_f16 v105, v127, s7, v141
	;; [unrolled: 1-line block ×7, first 2 shown]
	v_mul_f16_e32 v111, 0xb8b4, v109
	v_mul_f16_e32 v109, 0xba79, v109
	v_fma_f16 v82, v140, s6, v82
	v_fma_f16 v105, v142, s6, v105
	;; [unrolled: 1-line block ×4, first 2 shown]
	v_pk_add_f16 v122, v48, v103 neg_lo:[0,1] neg_hi:[0,1]
	v_add_f16_e32 v48, v82, v111
	v_add_f16_e32 v103, v105, v107
	v_pack_b32_f16 v121, v48, v103
	v_sub_f16_e32 v48, v126, v138
	v_sub_f16_e32 v103, v130, v139
	ds_write2_b64 v85, v[121:122], v[119:120] offset0:2 offset1:3
	v_pack_b32_f16 v119, v48, v103
	v_pk_add_f16 v48, v108, v104
	v_pk_add_f16 v48, v48, v106
	;; [unrolled: 1-line block ×3, first 2 shown]
	v_sub_f16_e32 v82, v82, v111
	v_sub_f16_e32 v105, v105, v107
	v_pk_add_f16 v122, v48, v83
	v_pk_add_f16 v48, v118, v114
	v_pack_b32_f16 v120, v82, v105
	v_pk_add_f16 v48, v48, v116
	ds_write_b64 v85, v[119:120] offset:32
	v_sub_f16_e32 v105, v106, v104
	v_add_f16_e32 v115, v104, v83
	v_sub_f16_e32 v120, v49, v83
	v_pk_add_f16 v48, v48, v110
	v_add_f16_e32 v82, v106, v49
	v_sub_f16_sdwa v85, v106, v49 dst_sel:DWORD dst_unused:UNUSED_PAD src0_sel:WORD_1 src1_sel:WORD_1
	v_sub_f16_e32 v103, v104, v106
	v_add_f16_sdwa v107, v106, v49 dst_sel:DWORD dst_unused:UNUSED_PAD src0_sel:WORD_1 src1_sel:WORD_1
	v_sub_f16_e32 v109, v106, v49
	v_sub_f16_sdwa v111, v104, v106 dst_sel:DWORD dst_unused:UNUSED_PAD src0_sel:WORD_1 src1_sel:WORD_1
	v_sub_f16_sdwa v106, v106, v104 dst_sel:DWORD dst_unused:UNUSED_PAD src0_sel:WORD_1 src1_sel:WORD_1
	;; [unrolled: 1-line block ×3, first 2 shown]
	v_sub_f16_e32 v117, v104, v83
	v_add_f16_sdwa v104, v104, v83 dst_sel:DWORD dst_unused:UNUSED_PAD src0_sel:WORD_1 src1_sel:WORD_1
	v_sub_f16_e32 v119, v83, v49
	v_sub_f16_sdwa v121, v83, v49 dst_sel:DWORD dst_unused:UNUSED_PAD src0_sel:WORD_1 src1_sel:WORD_1
	v_sub_f16_sdwa v49, v49, v83 dst_sel:DWORD dst_unused:UNUSED_PAD src0_sel:WORD_1 src1_sel:WORD_1
	v_add_f16_e32 v83, v116, v110
	v_sub_f16_sdwa v123, v116, v110 dst_sel:DWORD dst_unused:UNUSED_PAD src0_sel:WORD_1 src1_sel:WORD_1
	v_sub_f16_e32 v124, v114, v116
	v_sub_f16_e32 v125, v116, v114
	v_add_f16_sdwa v126, v116, v110 dst_sel:DWORD dst_unused:UNUSED_PAD src0_sel:WORD_1 src1_sel:WORD_1
	v_sub_f16_e32 v127, v116, v110
	v_sub_f16_sdwa v128, v114, v116 dst_sel:DWORD dst_unused:UNUSED_PAD src0_sel:WORD_1 src1_sel:WORD_1
	v_sub_f16_sdwa v116, v116, v114 dst_sel:DWORD dst_unused:UNUSED_PAD src0_sel:WORD_1 src1_sel:WORD_1
	;; [unrolled: 1-line block ×3, first 2 shown]
	v_add_f16_e32 v130, v114, v112
	v_sub_f16_e32 v131, v114, v112
	v_add_f16_sdwa v114, v114, v112 dst_sel:DWORD dst_unused:UNUSED_PAD src0_sel:WORD_1 src1_sel:WORD_1
	v_sub_f16_e32 v132, v112, v110
	v_sub_f16_e32 v133, v110, v112
	v_sub_f16_sdwa v134, v112, v110 dst_sel:DWORD dst_unused:UNUSED_PAD src0_sel:WORD_1 src1_sel:WORD_1
	v_sub_f16_sdwa v110, v110, v112 dst_sel:DWORD dst_unused:UNUSED_PAD src0_sel:WORD_1 src1_sel:WORD_1
	v_pk_add_f16 v112, v48, v112
	v_add_f16_e32 v48, v105, v120
	v_fma_f16 v105, v115, -0.5, v108
	v_fma_f16 v115, v85, s1, v105
	v_fma_f16 v105, v85, s7, v105
	;; [unrolled: 1-line block ×4, first 2 shown]
	v_fma_f16 v120, v82, -0.5, v108
	v_lshrrev_b32_e32 v82, 16, v108
	v_fma_f16 v115, v48, s6, v115
	v_fma_f16 v105, v48, s6, v105
	v_add_f16_e32 v48, v106, v49
	v_fma_f16 v49, v104, -0.5, v82
	v_fma_f16 v104, v109, s7, v49
	v_fma_f16 v49, v109, s1, v49
	;; [unrolled: 1-line block ×4, first 2 shown]
	v_fma_f16 v49, v130, -0.5, v118
	v_fma_f16 v104, v117, s0, v104
	v_fma_f16 v108, v123, s1, v49
	;; [unrolled: 1-line block ×4, first 2 shown]
	v_add_f16_e32 v48, v125, v133
	v_fma_f16 v108, v129, s12, v108
	v_fma_f16 v49, v129, s0, v49
	v_fma_f16 v125, v83, -0.5, v118
	v_lshrrev_b32_e32 v83, 16, v118
	v_fma_f16 v108, v48, s6, v108
	v_fma_f16 v48, v48, s6, v49
	v_add_f16_e32 v49, v116, v110
	v_fma_f16 v110, v114, -0.5, v83
	v_fma_f16 v114, v127, s7, v110
	v_fma_f16 v114, v131, s0, v114
	;; [unrolled: 1-line block ×6, first 2 shown]
	v_mul_f16_e32 v110, 0xbb9c, v114
	v_mul_f16_e32 v114, 0x34f2, v114
	v_fma_f16 v110, v108, s6, v110
	v_fma_f16 v108, v108, s1, v114
	v_mul_f16_e32 v114, 0xbb9c, v49
	v_mul_f16_e32 v49, 0xb4f2, v49
	v_fma_f16 v114, v48, s2, v114
	v_fma_f16 v116, v48, s1, v49
	v_add_f16_e32 v103, v103, v119
	v_fma_f16 v119, v126, -0.5, v83
	v_add_f16_e32 v48, v105, v114
	v_add_f16_e32 v49, v106, v116
	v_fma_f16 v83, v131, s1, v119
	v_pack_b32_f16 v49, v48, v49
	v_add_f16_e32 v48, v115, v110
	v_add_f16_e32 v118, v104, v108
	v_fma_f16 v107, v107, -0.5, v82
	v_add_f16_e32 v111, v111, v121
	v_add_f16_e32 v121, v128, v134
	v_fma_f16 v82, v129, s7, v125
	v_fma_f16 v83, v127, s0, v83
	v_pack_b32_f16 v48, v48, v118
	v_add_f16_e32 v118, v124, v132
	v_fma_f16 v82, v123, s12, v82
	v_fma_f16 v83, v121, s6, v83
	;; [unrolled: 1-line block ×3, first 2 shown]
	v_mul_f16_e32 v124, 0xb8b4, v83
	v_fma_f16 v124, v82, s13, v124
	v_mul_f16_e32 v82, 0x38b4, v82
	v_fma_f16 v126, v83, s13, v82
	v_fma_f16 v82, v113, s7, v120
	;; [unrolled: 1-line block ×7, first 2 shown]
	v_add_f16_e32 v82, v128, v124
	v_add_f16_e32 v83, v130, v126
	v_pack_b32_f16 v83, v82, v83
	v_pk_add_f16 v82, v122, v112
	ds_write2_b64 v86, v[82:83], v[48:49] offset1:1
	v_sub_f16_e32 v48, v128, v124
	v_sub_f16_e32 v82, v130, v126
	v_pack_b32_f16 v48, v48, v82
	v_fma_f16 v82, v113, s1, v120
	v_fma_f16 v82, v85, s0, v82
	v_sub_f16_e32 v49, v115, v110
	v_sub_f16_e32 v83, v104, v108
	v_fma_f16 v85, v103, s6, v82
	v_fma_f16 v82, v117, s7, v107
	v_pack_b32_f16 v49, v49, v83
	v_fma_f16 v82, v109, s12, v82
	v_fma_f16 v83, v131, s7, v119
	;; [unrolled: 1-line block ×8, first 2 shown]
	v_mul_f16_e32 v104, 0xb8b4, v83
	v_mul_f16_e32 v83, 0xba79, v83
	v_fma_f16 v104, v82, s3, v104
	v_fma_f16 v107, v82, s0, v83
	v_add_f16_e32 v82, v85, v104
	v_add_f16_e32 v108, v103, v107
	v_pk_add_f16 v83, v122, v112 neg_lo:[0,1] neg_hi:[0,1]
	v_pack_b32_f16 v82, v82, v108
	ds_write2_b64 v86, v[82:83], v[48:49] offset0:2 offset1:3
	v_sub_f16_e32 v48, v105, v114
	v_sub_f16_e32 v49, v85, v104
	;; [unrolled: 1-line block ×4, first 2 shown]
	v_pack_b32_f16 v49, v49, v83
	v_pack_b32_f16 v48, v48, v82
	ds_write_b64 v86, v[48:49] offset:32
	s_waitcnt lgkmcnt(0)
	s_barrier
	ds_read2_b32 v[85:86], v81 offset0:16 offset1:216
	ds_read2_b32 v[103:104], v80 offset0:32 offset1:232
	;; [unrolled: 1-line block ×3, first 2 shown]
	ds_read2_b32 v[107:108], v77 offset1:200
	s_waitcnt lgkmcnt(3)
	v_lshrrev_b32_e32 v48, 16, v85
	v_mul_f16_sdwa v49, v4, v85 dst_sel:DWORD dst_unused:UNUSED_PAD src0_sel:WORD_1 src1_sel:DWORD
	v_fma_f16 v49, v4, v48, -v49
	v_mul_f16_sdwa v48, v4, v48 dst_sel:DWORD dst_unused:UNUSED_PAD src0_sel:WORD_1 src1_sel:DWORD
	v_fma_f16 v82, v4, v85, v48
	s_waitcnt lgkmcnt(2)
	v_lshrrev_b32_e32 v4, 16, v103
	v_mul_f16_sdwa v48, v5, v103 dst_sel:DWORD dst_unused:UNUSED_PAD src0_sel:WORD_1 src1_sel:DWORD
	v_fma_f16 v109, v5, v4, -v48
	v_mul_f16_sdwa v4, v5, v4 dst_sel:DWORD dst_unused:UNUSED_PAD src0_sel:WORD_1 src1_sel:DWORD
	v_fma_f16 v110, v5, v103, v4
	;; [unrolled: 6-line block ×4, first 2 shown]
	v_lshrrev_b32_e32 v4, 16, v86
	v_mul_f16_sdwa v6, v16, v86 dst_sel:DWORD dst_unused:UNUSED_PAD src0_sel:WORD_1 src1_sel:DWORD
	v_mul_f16_sdwa v5, v16, v4 dst_sel:DWORD dst_unused:UNUSED_PAD src0_sel:WORD_1 src1_sel:DWORD
	v_fma_f16 v4, v16, v4, -v6
	v_lshrrev_b32_e32 v6, 16, v104
	v_fma_f16 v5, v16, v86, v5
	v_mul_f16_sdwa v7, v17, v6 dst_sel:DWORD dst_unused:UNUSED_PAD src0_sel:WORD_1 src1_sel:DWORD
	ds_read2_b32 v[85:86], v78 offset0:16 offset1:216
	v_fma_f16 v48, v17, v104, v7
	v_mul_f16_sdwa v7, v17, v104 dst_sel:DWORD dst_unused:UNUSED_PAD src0_sel:WORD_1 src1_sel:DWORD
	v_fma_f16 v16, v17, v6, -v7
	v_lshrrev_b32_e32 v6, 16, v106
	v_mul_f16_sdwa v17, v18, v106 dst_sel:DWORD dst_unused:UNUSED_PAD src0_sel:WORD_1 src1_sel:DWORD
	v_mul_f16_sdwa v7, v18, v6 dst_sel:DWORD dst_unused:UNUSED_PAD src0_sel:WORD_1 src1_sel:DWORD
	v_fma_f16 v6, v18, v6, -v17
	v_lshrrev_b32_e32 v17, 16, v108
	v_mul_f16_sdwa v103, v19, v108 dst_sel:DWORD dst_unused:UNUSED_PAD src0_sel:WORD_1 src1_sel:DWORD
	v_fma_f16 v7, v18, v106, v7
	v_mul_f16_sdwa v18, v19, v17 dst_sel:DWORD dst_unused:UNUSED_PAD src0_sel:WORD_1 src1_sel:DWORD
	v_fma_f16 v17, v19, v17, -v103
	ds_read2_b32 v[103:104], v72 offset0:32 offset1:232
	v_fma_f16 v18, v19, v108, v18
	s_waitcnt lgkmcnt(1)
	v_lshrrev_b32_e32 v19, 16, v85
	v_mul_f16_sdwa v105, v0, v85 dst_sel:DWORD dst_unused:UNUSED_PAD src0_sel:WORD_1 src1_sel:DWORD
	v_fma_f16 v114, v0, v19, -v105
	ds_read2_b32 v[105:106], v70 offset0:48 offset1:248
	v_mul_f16_sdwa v19, v0, v19 dst_sel:DWORD dst_unused:UNUSED_PAD src0_sel:WORD_1 src1_sel:DWORD
	ds_read2_b32 v[107:108], v68 offset1:200
	v_fma_f16 v115, v0, v85, v19
	s_waitcnt lgkmcnt(2)
	v_lshrrev_b32_e32 v0, 16, v103
	v_mul_f16_sdwa v19, v1, v103 dst_sel:DWORD dst_unused:UNUSED_PAD src0_sel:WORD_1 src1_sel:DWORD
	v_fma_f16 v116, v1, v0, -v19
	v_mul_f16_sdwa v0, v1, v0 dst_sel:DWORD dst_unused:UNUSED_PAD src0_sel:WORD_1 src1_sel:DWORD
	v_fma_f16 v103, v1, v103, v0
	s_waitcnt lgkmcnt(1)
	v_lshrrev_b32_e32 v0, 16, v105
	v_mul_f16_sdwa v1, v2, v105 dst_sel:DWORD dst_unused:UNUSED_PAD src0_sel:WORD_1 src1_sel:DWORD
	v_fma_f16 v117, v2, v0, -v1
	v_mul_f16_sdwa v0, v2, v0 dst_sel:DWORD dst_unused:UNUSED_PAD src0_sel:WORD_1 src1_sel:DWORD
	;; [unrolled: 6-line block ×3, first 2 shown]
	v_fma_f16 v107, v3, v107, v0
	v_lshrrev_b32_e32 v0, 16, v86
	v_mul_f16_sdwa v2, v20, v86 dst_sel:DWORD dst_unused:UNUSED_PAD src0_sel:WORD_1 src1_sel:DWORD
	v_mul_f16_sdwa v1, v20, v0 dst_sel:DWORD dst_unused:UNUSED_PAD src0_sel:WORD_1 src1_sel:DWORD
	v_fma_f16 v0, v20, v0, -v2
	v_lshrrev_b32_e32 v2, 16, v104
	v_fma_f16 v1, v20, v86, v1
	v_mul_f16_sdwa v3, v21, v2 dst_sel:DWORD dst_unused:UNUSED_PAD src0_sel:WORD_1 src1_sel:DWORD
	ds_read2_b32 v[85:86], v66 offset0:16 offset1:216
	v_fma_f16 v20, v21, v104, v3
	v_mul_f16_sdwa v3, v21, v104 dst_sel:DWORD dst_unused:UNUSED_PAD src0_sel:WORD_1 src1_sel:DWORD
	v_fma_f16 v19, v21, v2, -v3
	v_lshrrev_b32_e32 v2, 16, v106
	v_mul_f16_sdwa v21, v22, v106 dst_sel:DWORD dst_unused:UNUSED_PAD src0_sel:WORD_1 src1_sel:DWORD
	v_mul_f16_sdwa v3, v22, v2 dst_sel:DWORD dst_unused:UNUSED_PAD src0_sel:WORD_1 src1_sel:DWORD
	v_fma_f16 v2, v22, v2, -v21
	v_lshrrev_b32_e32 v21, 16, v108
	v_fma_f16 v3, v22, v106, v3
	v_mul_f16_sdwa v22, v23, v21 dst_sel:DWORD dst_unused:UNUSED_PAD src0_sel:WORD_1 src1_sel:DWORD
	v_mul_f16_sdwa v104, v23, v108 dst_sel:DWORD dst_unused:UNUSED_PAD src0_sel:WORD_1 src1_sel:DWORD
	v_fma_f16 v22, v23, v108, v22
	v_fma_f16 v21, v23, v21, -v104
	s_waitcnt lgkmcnt(0)
	v_lshrrev_b32_e32 v23, 16, v85
	v_mul_f16_sdwa v104, v84, v85 dst_sel:DWORD dst_unused:UNUSED_PAD src0_sel:WORD_1 src1_sel:DWORD
	v_fma_f16 v104, v84, v23, -v104
	v_mul_f16_sdwa v23, v84, v23 dst_sel:DWORD dst_unused:UNUSED_PAD src0_sel:WORD_1 src1_sel:DWORD
	v_fma_f16 v23, v84, v85, v23
	v_sub_f16_e32 v84, v110, v113
	v_sub_f16_e32 v85, v107, v103
	v_add_f16_e32 v106, v84, v85
	v_sub_f16_e32 v84, v109, v112
	v_sub_f16_e32 v85, v118, v116
	v_add_f16_e32 v108, v84, v85
	v_sub_f16_e32 v84, v111, v115
	v_sub_f16_e32 v85, v23, v105
	v_add_f16_e32 v119, v84, v85
	v_sub_f16_e32 v84, v83, v114
	v_sub_f16_e32 v85, v104, v117
	v_add_f16_e32 v120, v84, v85
	v_add_f16_e32 v84, v115, v105
	v_fma_f16 v121, v84, -0.5, v82
	v_sub_f16_e32 v122, v83, v104
	v_fma_f16 v84, v122, s7, v121
	v_sub_f16_e32 v123, v114, v117
	v_fma_f16 v84, v123, s12, v84
	v_fma_f16 v124, v119, s6, v84
	v_add_f16_e32 v84, v114, v117
	v_fma_f16 v125, v84, -0.5, v49
	v_sub_f16_e32 v126, v111, v23
	v_fma_f16 v84, v126, s1, v125
	v_sub_f16_e32 v127, v115, v105
	v_fma_f16 v84, v127, s0, v84
	v_fma_f16 v128, v120, s6, v84
	ds_read2_b32 v[84:85], v76 offset1:200
	v_mul_f16_e32 v129, 0xb8b4, v128
	v_mul_f16_e32 v128, 0x3a79, v128
	v_fma_f16 v129, v124, s13, v129
	v_fma_f16 v124, v124, s0, v128
	s_waitcnt lgkmcnt(0)
	v_lshrrev_b32_e32 v130, 16, v84
	v_add_f16_e32 v128, v84, v110
	v_add_f16_e32 v131, v130, v109
	;; [unrolled: 1-line block ×18, first 2 shown]
	v_pack_b32_f16 v134, v134, v135
	v_add_f16_e32 v135, v113, v103
	v_sub_f16_e32 v140, v110, v107
	v_sub_f16_e32 v142, v113, v103
	;; [unrolled: 1-line block ×3, first 2 shown]
	v_add_f16_e32 v110, v110, v107
	v_fma_f16 v135, v135, -0.5, v84
	v_sub_f16_e32 v138, v112, v116
	v_fma_f16 v84, v110, -0.5, v84
	v_sub_f16_e32 v136, v109, v118
	v_sub_f16_e32 v103, v103, v107
	v_fma_f16 v107, v138, s1, v84
	v_fma_f16 v84, v138, s7, v84
	v_add_f16_e32 v103, v113, v103
	v_fma_f16 v107, v136, s12, v107
	v_fma_f16 v84, v136, s0, v84
	;; [unrolled: 1-line block ×4, first 2 shown]
	v_add_f16_e32 v103, v109, v118
	v_fma_f16 v103, v103, -0.5, v130
	v_sub_f16_e32 v109, v112, v109
	v_sub_f16_e32 v110, v116, v118
	v_add_f16_e32 v109, v109, v110
	v_fma_f16 v110, v142, s7, v103
	v_fma_f16 v103, v142, s1, v103
	;; [unrolled: 1-line block ×6, first 2 shown]
	v_add_f16_e32 v109, v111, v23
	v_fma_f16 v82, v109, -0.5, v82
	v_sub_f16_e32 v109, v115, v111
	v_sub_f16_e32 v23, v105, v23
	v_fma_f16 v105, v123, s1, v82
	v_fma_f16 v82, v123, s7, v82
	v_add_f16_e32 v23, v109, v23
	v_fma_f16 v105, v122, s12, v105
	v_fma_f16 v82, v122, s0, v82
	;; [unrolled: 1-line block ×4, first 2 shown]
	v_add_f16_e32 v82, v83, v104
	v_fma_f16 v49, v82, -0.5, v49
	v_sub_f16_e32 v82, v114, v83
	v_sub_f16_e32 v83, v117, v104
	v_add_f16_e32 v82, v82, v83
	v_fma_f16 v83, v127, s7, v49
	v_fma_f16 v83, v126, s0, v83
	;; [unrolled: 1-line block ×6, first 2 shown]
	v_mul_f16_e32 v82, 0xbb9c, v83
	v_mul_f16_e32 v83, 0x34f2, v83
	v_fma_f16 v82, v105, s6, v82
	v_fma_f16 v83, v105, s1, v83
	v_mul_f16_e32 v104, 0xbb9c, v49
	v_mul_f16_e32 v49, 0xb4f2, v49
	v_fma_f16 v104, v23, s2, v104
	v_fma_f16 v23, v23, s1, v49
	v_add_f16_e32 v49, v107, v82
	v_add_f16_e32 v105, v110, v83
	v_add_f16_e32 v139, v112, v116
	v_pack_b32_f16 v49, v49, v105
	v_add_f16_e32 v105, v84, v104
	v_add_f16_e32 v109, v103, v23
	v_fma_f16 v139, v139, -0.5, v130
	v_pack_b32_f16 v105, v105, v109
	v_fma_f16 v141, v140, s1, v139
	s_barrier
	ds_write2_b32 v87, v49, v105 offset0:20 offset1:30
	v_fma_f16 v105, v140, s7, v139
	v_fma_f16 v137, v136, s7, v135
	v_fma_f16 v141, v142, s0, v141
	v_fma_f16 v49, v136, s1, v135
	v_fma_f16 v105, v142, s12, v105
	v_fma_f16 v137, v138, s12, v137
	v_fma_f16 v141, v108, s6, v141
	v_fma_f16 v49, v138, s0, v49
	v_fma_f16 v105, v108, s6, v105
	v_fma_f16 v108, v126, s7, v125
	v_fma_f16 v137, v106, s6, v137
	v_fma_f16 v49, v106, s6, v49
	v_fma_f16 v106, v122, s1, v121
	v_fma_f16 v108, v127, s12, v108
	v_fma_f16 v106, v123, s0, v106
	v_fma_f16 v108, v120, s6, v108
	v_fma_f16 v106, v119, s6, v106
	v_mul_f16_e32 v109, 0xb8b4, v108
	v_mul_f16_e32 v108, 0xba79, v108
	v_fma_f16 v109, v106, s3, v109
	v_fma_f16 v106, v106, s0, v108
	v_sub_f16_e32 v108, v128, v132
	v_sub_f16_e32 v111, v131, v133
	v_add_f16_e32 v112, v49, v109
	v_add_f16_e32 v113, v105, v106
	v_pack_b32_f16 v112, v112, v113
	v_pack_b32_f16 v108, v108, v111
	ds_write2_b32 v87, v112, v108 offset0:40 offset1:50
	v_sub_f16_e32 v108, v137, v129
	v_sub_f16_e32 v82, v107, v82
	;; [unrolled: 1-line block ×4, first 2 shown]
	v_pack_b32_f16 v107, v108, v107
	v_pack_b32_f16 v82, v82, v83
	ds_write2_b32 v87, v107, v82 offset0:60 offset1:70
	v_sub_f16_e32 v82, v84, v104
	v_sub_f16_e32 v49, v49, v109
	;; [unrolled: 1-line block ×4, first 2 shown]
	v_pack_b32_f16 v23, v82, v23
	v_pack_b32_f16 v49, v49, v83
	v_add_f16_e32 v143, v137, v129
	v_add_f16_e32 v144, v141, v124
	ds_write2_b32 v87, v23, v49 offset0:80 offset1:90
	v_lshrrev_b32_e32 v23, 16, v86
	v_pack_b32_f16 v143, v143, v144
	v_mul_f16_sdwa v49, v88, v23 dst_sel:DWORD dst_unused:UNUSED_PAD src0_sel:WORD_1 src1_sel:DWORD
	ds_write2_b32 v87, v134, v143 offset1:10
	v_fma_f16 v49, v88, v86, v49
	v_mul_f16_sdwa v82, v88, v86 dst_sel:DWORD dst_unused:UNUSED_PAD src0_sel:WORD_1 src1_sel:DWORD
	v_sub_f16_e32 v86, v48, v18
	v_sub_f16_e32 v87, v22, v20
	v_fma_f16 v23, v88, v23, -v82
	v_add_f16_e32 v86, v86, v87
	v_sub_f16_e32 v87, v16, v17
	v_sub_f16_e32 v88, v21, v19
	v_add_f16_e32 v87, v87, v88
	v_sub_f16_e32 v88, v7, v1
	v_sub_f16_e32 v103, v49, v3
	;; [unrolled: 3-line block ×3, first 2 shown]
	v_add_f16_e32 v108, v0, v2
	v_add_f16_e32 v103, v103, v104
	;; [unrolled: 1-line block ×3, first 2 shown]
	v_fma_f16 v108, v108, -0.5, v4
	v_sub_f16_e32 v109, v7, v49
	v_fma_f16 v104, v104, -0.5, v5
	v_sub_f16_e32 v105, v6, v23
	v_fma_f16 v110, v109, s1, v108
	v_sub_f16_e32 v111, v1, v3
	v_fma_f16 v106, v105, s7, v104
	;; [unrolled: 2-line block ×3, first 2 shown]
	v_fma_f16 v106, v107, s12, v106
	v_fma_f16 v110, v103, s6, v110
	v_add_f16_e32 v82, v18, v20
	v_add_f16_e32 v83, v48, v22
	v_lshrrev_b32_e32 v84, 16, v85
	v_fma_f16 v106, v88, s6, v106
	v_mul_f16_e32 v112, 0xb8b4, v110
	v_mul_f16_e32 v110, 0x3a79, v110
	v_fma_f16 v82, v82, -0.5, v85
	v_fma_f16 v83, v83, -0.5, v85
	v_add_f16_e32 v85, v85, v48
	v_fma_f16 v112, v106, s13, v112
	v_fma_f16 v106, v106, s0, v110
	v_add_f16_e32 v110, v84, v16
	v_add_f16_e32 v113, v5, v7
	;; [unrolled: 1-line block ×17, first 2 shown]
	v_sub_f16_e32 v118, v17, v19
	v_sub_f16_e32 v122, v18, v20
	;; [unrolled: 1-line block ×4, first 2 shown]
	v_pack_b32_f16 v115, v115, v116
	v_sub_f16_e32 v116, v16, v21
	v_sub_f16_e32 v120, v48, v22
	v_add_f16_e32 v18, v18, v20
	v_fma_f16 v20, v118, s1, v83
	v_fma_f16 v22, v118, s7, v83
	;; [unrolled: 1-line block ×6, first 2 shown]
	v_add_f16_e32 v22, v16, v21
	v_add_f16_e32 v119, v17, v19
	v_fma_f16 v22, v22, -0.5, v84
	v_sub_f16_e32 v16, v17, v16
	v_sub_f16_e32 v17, v19, v21
	v_add_f16_e32 v16, v16, v17
	v_fma_f16 v17, v122, s7, v22
	v_fma_f16 v19, v122, s1, v22
	v_fma_f16 v17, v120, s0, v17
	v_fma_f16 v19, v120, s12, v19
	v_fma_f16 v17, v16, s6, v17
	v_fma_f16 v16, v16, s6, v19
	v_add_f16_e32 v19, v7, v49
	v_fma_f16 v5, v19, -0.5, v5
	v_sub_f16_e32 v1, v1, v7
	v_sub_f16_e32 v3, v3, v49
	v_add_f16_e32 v1, v1, v3
	v_fma_f16 v3, v107, s1, v5
	v_fma_f16 v5, v107, s7, v5
	v_fma_f16 v3, v105, s12, v3
	v_fma_f16 v5, v105, s0, v5
	v_fma_f16 v3, v1, s6, v3
	v_fma_f16 v1, v1, s6, v5
	v_add_f16_e32 v5, v6, v23
	v_fma_f16 v4, v5, -0.5, v4
	v_sub_f16_e32 v0, v0, v6
	v_sub_f16_e32 v2, v2, v23
	v_add_f16_e32 v0, v0, v2
	v_fma_f16 v2, v111, s7, v4
	v_fma_f16 v2, v109, s0, v2
	v_fma_f16 v4, v111, s1, v4
	v_fma_f16 v2, v0, s6, v2
	v_fma_f16 v4, v109, s12, v4
	v_fma_f16 v0, v0, s6, v4
	v_mul_f16_e32 v4, 0xbb9c, v2
	v_mul_f16_e32 v2, 0x34f2, v2
	v_fma_f16 v4, v3, s6, v4
	v_fma_f16 v2, v3, s1, v2
	v_mul_f16_e32 v3, 0xbb9c, v0
	v_mul_f16_e32 v0, 0xb4f2, v0
	v_fma_f16 v3, v1, s2, v3
	v_fma_f16 v0, v1, s1, v0
	v_add_f16_e32 v1, v20, v4
	v_add_f16_e32 v5, v17, v2
	v_pack_b32_f16 v1, v1, v5
	v_add_f16_e32 v5, v18, v3
	v_add_f16_e32 v6, v16, v0
	v_fma_f16 v7, v109, s7, v108
	v_fma_f16 v119, v119, -0.5, v84
	v_pack_b32_f16 v5, v5, v6
	v_fma_f16 v6, v105, s1, v104
	v_fma_f16 v7, v111, s12, v7
	ds_write2_b32 v89, v1, v5 offset0:20 offset1:30
	v_fma_f16 v1, v116, s1, v82
	v_fma_f16 v5, v120, s7, v119
	;; [unrolled: 1-line block ×7, first 2 shown]
	v_mul_f16_e32 v19, 0xb8b4, v7
	v_mul_f16_e32 v7, 0xba79, v7
	v_fma_f16 v117, v116, s7, v82
	v_fma_f16 v121, v120, s1, v119
	;; [unrolled: 1-line block ×8, first 2 shown]
	v_sub_f16_e32 v7, v85, v113
	v_sub_f16_e32 v21, v110, v114
	v_add_f16_e32 v22, v1, v19
	v_add_f16_e32 v23, v5, v6
	v_fma_f16 v117, v86, s6, v117
	v_fma_f16 v121, v87, s6, v121
	v_pack_b32_f16 v22, v22, v23
	v_pack_b32_f16 v7, v7, v21
	ds_write2_b32 v89, v22, v7 offset0:40 offset1:50
	v_sub_f16_e32 v7, v117, v112
	v_sub_f16_e32 v4, v20, v4
	;; [unrolled: 1-line block ×4, first 2 shown]
	v_pack_b32_f16 v7, v7, v20
	v_pack_b32_f16 v2, v4, v2
	v_add_f16_e32 v123, v117, v112
	v_add_f16_e32 v124, v121, v106
	ds_write2_b32 v89, v7, v2 offset0:60 offset1:70
	v_sub_f16_e32 v2, v18, v3
	v_sub_f16_e32 v1, v1, v19
	;; [unrolled: 1-line block ×4, first 2 shown]
	v_pack_b32_f16 v123, v123, v124
	v_pack_b32_f16 v0, v2, v0
	;; [unrolled: 1-line block ×3, first 2 shown]
	ds_write2_b32 v89, v115, v123 offset1:10
	ds_write2_b32 v89, v0, v1 offset0:80 offset1:90
	s_waitcnt lgkmcnt(0)
	s_barrier
	ds_read2_b32 v[1:2], v81 offset0:16 offset1:216
	ds_read2_b32 v[3:4], v80 offset0:32 offset1:232
	;; [unrolled: 1-line block ×3, first 2 shown]
	ds_read2_b32 v[21:22], v68 offset1:200
	s_waitcnt lgkmcnt(3)
	v_lshrrev_b32_e32 v0, 16, v1
	v_mul_f16_sdwa v5, v12, v1 dst_sel:DWORD dst_unused:UNUSED_PAD src0_sel:WORD_1 src1_sel:DWORD
	v_fma_f16 v16, v12, v0, -v5
	v_mul_f16_sdwa v0, v12, v0 dst_sel:DWORD dst_unused:UNUSED_PAD src0_sel:WORD_1 src1_sel:DWORD
	v_fma_f16 v17, v12, v1, v0
	s_waitcnt lgkmcnt(2)
	v_lshrrev_b32_e32 v0, 16, v3
	ds_read2_b32 v[5:6], v79 offset0:48 offset1:248
	v_mul_f16_sdwa v1, v13, v3 dst_sel:DWORD dst_unused:UNUSED_PAD src0_sel:WORD_1 src1_sel:DWORD
	v_fma_f16 v23, v13, v0, -v1
	v_mul_f16_sdwa v0, v13, v0 dst_sel:DWORD dst_unused:UNUSED_PAD src0_sel:WORD_1 src1_sel:DWORD
	v_fma_f16 v48, v13, v3, v0
	ds_read2_b32 v[12:13], v77 offset1:200
	s_waitcnt lgkmcnt(1)
	v_lshrrev_b32_e32 v0, 16, v5
	v_mul_f16_sdwa v1, v14, v5 dst_sel:DWORD dst_unused:UNUSED_PAD src0_sel:WORD_1 src1_sel:DWORD
	v_fma_f16 v18, v14, v0, -v1
	v_mul_f16_sdwa v0, v14, v0 dst_sel:DWORD dst_unused:UNUSED_PAD src0_sel:WORD_1 src1_sel:DWORD
	v_fma_f16 v49, v14, v5, v0
	s_waitcnt lgkmcnt(0)
	v_lshrrev_b32_e32 v0, 16, v12
	v_mul_f16_sdwa v1, v15, v12 dst_sel:DWORD dst_unused:UNUSED_PAD src0_sel:WORD_1 src1_sel:DWORD
	v_fma_f16 v82, v15, v0, -v1
	v_mul_f16_sdwa v0, v15, v0 dst_sel:DWORD dst_unused:UNUSED_PAD src0_sel:WORD_1 src1_sel:DWORD
	v_fma_f16 v83, v15, v12, v0
	v_lshrrev_b32_e32 v0, 16, v2
	v_mul_f16_sdwa v1, v24, v0 dst_sel:DWORD dst_unused:UNUSED_PAD src0_sel:WORD_1 src1_sel:DWORD
	v_fma_f16 v1, v24, v2, v1
	v_mul_f16_sdwa v2, v24, v2 dst_sel:DWORD dst_unused:UNUSED_PAD src0_sel:WORD_1 src1_sel:DWORD
	v_fma_f16 v0, v24, v0, -v2
	v_lshrrev_b32_e32 v2, 16, v4
	v_mul_f16_sdwa v3, v25, v2 dst_sel:DWORD dst_unused:UNUSED_PAD src0_sel:WORD_1 src1_sel:DWORD
	v_fma_f16 v5, v25, v4, v3
	v_mul_f16_sdwa v3, v25, v4 dst_sel:DWORD dst_unused:UNUSED_PAD src0_sel:WORD_1 src1_sel:DWORD
	v_fma_f16 v4, v25, v2, -v3
	v_lshrrev_b32_e32 v2, 16, v6
	ds_read2_b32 v[14:15], v78 offset0:16 offset1:216
	v_mul_f16_sdwa v3, v26, v2 dst_sel:DWORD dst_unused:UNUSED_PAD src0_sel:WORD_1 src1_sel:DWORD
	v_fma_f16 v3, v26, v6, v3
	v_mul_f16_sdwa v6, v26, v6 dst_sel:DWORD dst_unused:UNUSED_PAD src0_sel:WORD_1 src1_sel:DWORD
	v_fma_f16 v2, v26, v2, -v6
	v_lshrrev_b32_e32 v6, 16, v13
	v_mul_f16_sdwa v7, v27, v6 dst_sel:DWORD dst_unused:UNUSED_PAD src0_sel:WORD_1 src1_sel:DWORD
	v_mul_f16_sdwa v12, v27, v13 dst_sel:DWORD dst_unused:UNUSED_PAD src0_sel:WORD_1 src1_sel:DWORD
	v_fma_f16 v7, v27, v13, v7
	v_fma_f16 v6, v27, v6, -v12
	s_waitcnt lgkmcnt(0)
	v_lshrrev_b32_e32 v12, 16, v14
	v_mul_f16_sdwa v13, v8, v14 dst_sel:DWORD dst_unused:UNUSED_PAD src0_sel:WORD_1 src1_sel:DWORD
	v_fma_f16 v24, v8, v12, -v13
	v_mul_f16_sdwa v12, v8, v12 dst_sel:DWORD dst_unused:UNUSED_PAD src0_sel:WORD_1 src1_sel:DWORD
	v_fma_f16 v25, v8, v14, v12
	ds_read2_b32 v[13:14], v70 offset0:48 offset1:248
	v_lshrrev_b32_e32 v8, 16, v19
	v_mul_f16_sdwa v12, v9, v19 dst_sel:DWORD dst_unused:UNUSED_PAD src0_sel:WORD_1 src1_sel:DWORD
	v_fma_f16 v26, v9, v8, -v12
	v_mul_f16_sdwa v8, v9, v8 dst_sel:DWORD dst_unused:UNUSED_PAD src0_sel:WORD_1 src1_sel:DWORD
	v_fma_f16 v27, v9, v19, v8
	s_waitcnt lgkmcnt(0)
	v_lshrrev_b32_e32 v8, 16, v13
	v_mul_f16_sdwa v9, v10, v13 dst_sel:DWORD dst_unused:UNUSED_PAD src0_sel:WORD_1 src1_sel:DWORD
	v_fma_f16 v84, v10, v8, -v9
	v_mul_f16_sdwa v8, v10, v8 dst_sel:DWORD dst_unused:UNUSED_PAD src0_sel:WORD_1 src1_sel:DWORD
	v_fma_f16 v85, v10, v13, v8
	v_lshrrev_b32_e32 v8, 16, v21
	v_mul_f16_sdwa v9, v11, v21 dst_sel:DWORD dst_unused:UNUSED_PAD src0_sel:WORD_1 src1_sel:DWORD
	v_fma_f16 v86, v11, v8, -v9
	v_mul_f16_sdwa v8, v11, v8 dst_sel:DWORD dst_unused:UNUSED_PAD src0_sel:WORD_1 src1_sel:DWORD
	v_fma_f16 v87, v11, v21, v8
	v_lshrrev_b32_e32 v8, 16, v15
	v_mul_f16_sdwa v10, v28, v15 dst_sel:DWORD dst_unused:UNUSED_PAD src0_sel:WORD_1 src1_sel:DWORD
	v_mul_f16_sdwa v9, v28, v8 dst_sel:DWORD dst_unused:UNUSED_PAD src0_sel:WORD_1 src1_sel:DWORD
	v_fma_f16 v8, v28, v8, -v10
	v_lshrrev_b32_e32 v10, 16, v20
	v_mul_f16_sdwa v11, v29, v10 dst_sel:DWORD dst_unused:UNUSED_PAD src0_sel:WORD_1 src1_sel:DWORD
	v_fma_f16 v13, v29, v20, v11
	v_mul_f16_sdwa v11, v29, v20 dst_sel:DWORD dst_unused:UNUSED_PAD src0_sel:WORD_1 src1_sel:DWORD
	v_fma_f16 v12, v29, v10, -v11
	v_lshrrev_b32_e32 v10, 16, v14
	ds_read2_b32 v[19:20], v66 offset0:16 offset1:216
	v_mul_f16_sdwa v11, v30, v10 dst_sel:DWORD dst_unused:UNUSED_PAD src0_sel:WORD_1 src1_sel:DWORD
	v_fma_f16 v11, v30, v14, v11
	v_mul_f16_sdwa v14, v30, v14 dst_sel:DWORD dst_unused:UNUSED_PAD src0_sel:WORD_1 src1_sel:DWORD
	v_fma_f16 v10, v30, v10, -v14
	v_lshrrev_b32_e32 v14, 16, v22
	v_fma_f16 v9, v28, v15, v9
	v_mul_f16_sdwa v15, v31, v14 dst_sel:DWORD dst_unused:UNUSED_PAD src0_sel:WORD_1 src1_sel:DWORD
	v_mul_f16_sdwa v21, v31, v22 dst_sel:DWORD dst_unused:UNUSED_PAD src0_sel:WORD_1 src1_sel:DWORD
	v_fma_f16 v15, v31, v22, v15
	v_fma_f16 v14, v31, v14, -v21
	s_waitcnt lgkmcnt(0)
	v_lshrrev_b32_e32 v21, 16, v19
	v_mul_f16_sdwa v22, v90, v19 dst_sel:DWORD dst_unused:UNUSED_PAD src0_sel:WORD_1 src1_sel:DWORD
	v_fma_f16 v28, v90, v21, -v22
	v_mul_f16_sdwa v21, v90, v21 dst_sel:DWORD dst_unused:UNUSED_PAD src0_sel:WORD_1 src1_sel:DWORD
	v_fma_f16 v19, v90, v19, v21
	v_sub_f16_e32 v21, v48, v83
	v_sub_f16_e32 v22, v87, v27
	v_add_f16_e32 v29, v21, v22
	v_sub_f16_e32 v21, v23, v82
	v_sub_f16_e32 v22, v86, v26
	v_add_f16_e32 v30, v21, v22
	;; [unrolled: 3-line block ×4, first 2 shown]
	v_add_f16_e32 v21, v25, v85
	v_fma_f16 v89, v21, -0.5, v17
	v_sub_f16_e32 v90, v18, v28
	v_fma_f16 v21, v90, s7, v89
	v_sub_f16_e32 v103, v24, v84
	v_fma_f16 v21, v103, s12, v21
	v_fma_f16 v104, v31, s6, v21
	v_add_f16_e32 v21, v24, v84
	v_fma_f16 v105, v21, -0.5, v16
	v_sub_f16_e32 v106, v49, v19
	v_fma_f16 v21, v106, s1, v105
	v_sub_f16_e32 v107, v25, v85
	v_fma_f16 v21, v107, s0, v21
	v_fma_f16 v108, v88, s6, v21
	ds_read2_b32 v[21:22], v76 offset1:200
	v_mul_f16_e32 v109, 0xb8b4, v108
	v_mul_f16_e32 v108, 0x3a79, v108
	v_fma_f16 v109, v104, s13, v109
	v_fma_f16 v104, v104, s0, v108
	s_waitcnt lgkmcnt(0)
	v_lshrrev_b32_e32 v110, 16, v21
	v_add_f16_e32 v108, v21, v48
	v_add_f16_e32 v111, v110, v23
	;; [unrolled: 1-line block ×18, first 2 shown]
	v_pack_b32_f16 v114, v114, v115
	v_add_f16_e32 v115, v83, v27
	v_sub_f16_e32 v120, v48, v87
	v_sub_f16_e32 v122, v83, v27
	;; [unrolled: 1-line block ×3, first 2 shown]
	v_add_f16_e32 v48, v48, v87
	v_fma_f16 v115, v115, -0.5, v21
	v_sub_f16_e32 v118, v82, v26
	v_fma_f16 v21, v48, -0.5, v21
	v_sub_f16_e32 v116, v23, v86
	v_sub_f16_e32 v27, v27, v87
	v_fma_f16 v48, v118, s1, v21
	v_fma_f16 v21, v118, s7, v21
	v_add_f16_e32 v27, v83, v27
	v_fma_f16 v48, v116, s12, v48
	v_fma_f16 v21, v116, s0, v21
	;; [unrolled: 1-line block ×4, first 2 shown]
	v_add_f16_e32 v27, v23, v86
	v_add_f16_e32 v119, v82, v26
	v_fma_f16 v27, v27, -0.5, v110
	v_sub_f16_e32 v23, v82, v23
	v_sub_f16_e32 v26, v26, v86
	v_add_f16_e32 v23, v23, v26
	v_fma_f16 v26, v122, s7, v27
	v_fma_f16 v27, v122, s1, v27
	v_fma_f16 v26, v120, s0, v26
	v_fma_f16 v27, v120, s12, v27
	v_fma_f16 v26, v23, s6, v26
	v_fma_f16 v23, v23, s6, v27
	v_add_f16_e32 v27, v49, v19
	v_fma_f16 v17, v27, -0.5, v17
	v_sub_f16_e32 v25, v25, v49
	v_sub_f16_e32 v19, v85, v19
	v_add_f16_e32 v19, v25, v19
	v_fma_f16 v25, v103, s1, v17
	v_fma_f16 v17, v103, s7, v17
	v_fma_f16 v25, v90, s12, v25
	v_fma_f16 v17, v90, s0, v17
	v_fma_f16 v25, v19, s6, v25
	v_fma_f16 v17, v19, s6, v17
	;; [unrolled: 11-line block ×3, first 2 shown]
	v_mul_f16_e32 v18, 0xbb9c, v19
	v_mul_f16_e32 v19, 0x34f2, v19
	v_fma_f16 v18, v25, s6, v18
	v_fma_f16 v19, v25, s1, v19
	v_mul_f16_e32 v24, 0xbb9c, v16
	v_mul_f16_e32 v16, 0xb4f2, v16
	v_fma_f16 v24, v17, s2, v24
	v_fma_f16 v16, v17, s1, v16
	v_add_f16_e32 v17, v48, v18
	v_add_f16_e32 v25, v26, v19
	v_pack_b32_f16 v17, v17, v25
	v_add_f16_e32 v25, v21, v24
	v_add_f16_e32 v27, v23, v16
	v_pack_b32_f16 v25, v25, v27
	v_fma_f16 v28, v106, s7, v105
	v_fma_f16 v117, v116, s7, v115
	v_fma_f16 v119, v119, -0.5, v110
	s_barrier
	ds_write2_b32 v93, v17, v25 offset0:72 offset1:172
	v_fma_f16 v17, v116, s1, v115
	v_fma_f16 v27, v90, s1, v89
	;; [unrolled: 1-line block ×13, first 2 shown]
	v_mul_f16_e32 v29, 0xb8b4, v28
	v_mul_f16_e32 v28, 0xba79, v28
	v_fma_f16 v121, v122, s0, v121
	v_fma_f16 v25, v30, s6, v25
	;; [unrolled: 1-line block ×5, first 2 shown]
	v_sub_f16_e32 v28, v108, v112
	v_sub_f16_e32 v30, v111, v113
	v_add_f16_e32 v31, v17, v29
	v_add_f16_e32 v49, v25, v27
	v_pack_b32_f16 v31, v31, v49
	v_pack_b32_f16 v28, v28, v30
	ds_write2_b32 v94, v31, v28 offset0:144 offset1:244
	v_sub_f16_e32 v28, v117, v109
	v_sub_f16_e32 v18, v48, v18
	;; [unrolled: 1-line block ×4, first 2 shown]
	v_pack_b32_f16 v26, v28, v30
	v_pack_b32_f16 v18, v18, v19
	ds_write2_b32 v95, v26, v18 offset0:88 offset1:188
	v_sub_f16_e32 v18, v21, v24
	v_sub_f16_e32 v17, v17, v29
	;; [unrolled: 1-line block ×4, first 2 shown]
	v_pack_b32_f16 v16, v18, v16
	v_pack_b32_f16 v17, v17, v19
	ds_write2_b32 v96, v16, v17 offset0:32 offset1:132
	v_lshrrev_b32_e32 v16, 16, v20
	v_mul_f16_sdwa v18, v91, v20 dst_sel:DWORD dst_unused:UNUSED_PAD src0_sel:WORD_1 src1_sel:DWORD
	v_mul_f16_sdwa v17, v91, v16 dst_sel:DWORD dst_unused:UNUSED_PAD src0_sel:WORD_1 src1_sel:DWORD
	v_fma_f16 v16, v91, v16, -v18
	v_sub_f16_e32 v18, v5, v7
	v_sub_f16_e32 v19, v15, v13
	v_fma_f16 v17, v91, v20, v17
	v_add_f16_e32 v18, v18, v19
	v_sub_f16_e32 v19, v4, v6
	v_sub_f16_e32 v20, v14, v12
	v_add_f16_e32 v19, v19, v20
	v_sub_f16_e32 v20, v3, v9
	v_sub_f16_e32 v21, v17, v11
	;; [unrolled: 3-line block ×3, first 2 shown]
	v_add_f16_e32 v27, v8, v10
	v_add_f16_e32 v21, v21, v23
	;; [unrolled: 1-line block ×3, first 2 shown]
	v_fma_f16 v27, v27, -0.5, v0
	v_sub_f16_e32 v28, v3, v17
	v_fma_f16 v23, v23, -0.5, v1
	v_sub_f16_e32 v24, v2, v16
	v_fma_f16 v29, v28, s1, v27
	v_sub_f16_e32 v30, v9, v11
	v_fma_f16 v25, v24, s7, v23
	;; [unrolled: 2-line block ×3, first 2 shown]
	v_fma_f16 v25, v26, s12, v25
	v_fma_f16 v29, v21, s6, v29
	;; [unrolled: 1-line block ×3, first 2 shown]
	v_mul_f16_e32 v31, 0xb8b4, v29
	v_mul_f16_e32 v29, 0x3a79, v29
	v_lshrrev_b32_e32 v48, 16, v22
	v_fma_f16 v31, v25, s13, v31
	v_fma_f16 v25, v25, s0, v29
	v_add_f16_e32 v29, v22, v5
	v_add_f16_e32 v49, v48, v4
	;; [unrolled: 1-line block ×20, first 2 shown]
	v_pack_b32_f16 v84, v84, v85
	v_add_f16_e32 v85, v7, v13
	v_add_f16_e32 v89, v6, v12
	v_pack_b32_f16 v123, v123, v124
	v_fma_f16 v85, v85, -0.5, v22
	v_sub_f16_e32 v86, v4, v14
	v_fma_f16 v89, v89, -0.5, v48
	v_sub_f16_e32 v90, v5, v15
	ds_write2_b32 v92, v114, v123 offset1:100
	v_fma_f16 v87, v86, s7, v85
	v_sub_f16_e32 v88, v6, v12
	v_fma_f16 v91, v90, s1, v89
	v_sub_f16_e32 v92, v7, v13
	v_fma_f16 v87, v88, s12, v87
	v_fma_f16 v91, v92, s0, v91
	;; [unrolled: 1-line block ×4, first 2 shown]
	v_add_f16_e32 v93, v87, v31
	v_add_f16_e32 v94, v91, v25
	v_pack_b32_f16 v93, v93, v94
	ds_write2_b32 v99, v84, v93 offset1:100
	v_add_f16_e32 v84, v5, v15
	v_fma_f16 v22, v84, -0.5, v22
	v_sub_f16_e32 v5, v7, v5
	v_sub_f16_e32 v7, v13, v15
	v_add_f16_e32 v5, v5, v7
	v_fma_f16 v7, v88, s1, v22
	v_fma_f16 v13, v88, s7, v22
	v_fma_f16 v7, v86, s12, v7
	v_fma_f16 v13, v86, s0, v13
	v_fma_f16 v7, v5, s6, v7
	v_fma_f16 v5, v5, s6, v13
	v_add_f16_e32 v13, v4, v14
	v_fma_f16 v13, v13, -0.5, v48
	v_sub_f16_e32 v4, v6, v4
	v_sub_f16_e32 v6, v12, v14
	v_add_f16_e32 v4, v4, v6
	v_fma_f16 v6, v92, s7, v13
	v_fma_f16 v12, v92, s1, v13
	v_fma_f16 v6, v90, s0, v6
	v_fma_f16 v12, v90, s12, v12
	v_fma_f16 v6, v4, s6, v6
	v_fma_f16 v4, v4, s6, v12
	v_add_f16_e32 v12, v3, v17
	v_fma_f16 v1, v12, -0.5, v1
	v_sub_f16_e32 v3, v9, v3
	v_sub_f16_e32 v9, v11, v17
	v_add_f16_e32 v3, v3, v9
	v_fma_f16 v9, v26, s1, v1
	v_fma_f16 v1, v26, s7, v1
	v_fma_f16 v9, v24, s12, v9
	v_fma_f16 v1, v24, s0, v1
	v_fma_f16 v9, v3, s6, v9
	v_fma_f16 v1, v3, s6, v1
	v_add_f16_e32 v3, v2, v16
	v_fma_f16 v0, v3, -0.5, v0
	v_sub_f16_e32 v2, v8, v2
	v_sub_f16_e32 v3, v10, v16
	v_add_f16_e32 v2, v2, v3
	v_fma_f16 v3, v30, s7, v0
	v_fma_f16 v3, v28, s0, v3
	v_fma_f16 v0, v30, s1, v0
	v_fma_f16 v3, v2, s6, v3
	v_fma_f16 v0, v28, s12, v0
	v_fma_f16 v0, v2, s6, v0
	v_mul_f16_e32 v2, 0xbb9c, v3
	v_mul_f16_e32 v3, 0x34f2, v3
	v_fma_f16 v2, v9, s6, v2
	v_fma_f16 v3, v9, s1, v3
	v_mul_f16_e32 v8, 0xbb9c, v0
	v_mul_f16_e32 v0, 0xb4f2, v0
	v_fma_f16 v8, v1, s2, v8
	v_fma_f16 v0, v1, s1, v0
	v_add_f16_e32 v1, v7, v2
	v_add_f16_e32 v9, v6, v3
	v_pack_b32_f16 v1, v1, v9
	v_add_f16_e32 v9, v5, v8
	v_add_f16_e32 v10, v4, v0
	v_fma_f16 v11, v28, s7, v27
	v_pack_b32_f16 v9, v9, v10
	v_fma_f16 v10, v24, s1, v23
	v_fma_f16 v11, v30, s12, v11
	ds_write2_b32 v98, v1, v9 offset0:72 offset1:172
	v_fma_f16 v1, v86, s1, v85
	v_fma_f16 v9, v90, s7, v89
	;; [unrolled: 1-line block ×7, first 2 shown]
	v_mul_f16_e32 v12, 0xb8b4, v11
	v_mul_f16_e32 v11, 0xba79, v11
	v_fma_f16 v1, v18, s6, v1
	v_fma_f16 v9, v19, s6, v9
	;; [unrolled: 1-line block ×4, first 2 shown]
	v_sub_f16_e32 v11, v29, v82
	v_sub_f16_e32 v13, v49, v83
	v_add_f16_e32 v14, v1, v12
	v_add_f16_e32 v15, v9, v10
	v_pack_b32_f16 v14, v14, v15
	v_pack_b32_f16 v11, v11, v13
	ds_write2_b32 v100, v14, v11 offset0:144 offset1:244
	v_sub_f16_e32 v11, v87, v31
	v_sub_f16_e32 v2, v7, v2
	v_sub_f16_e32 v5, v5, v8
	v_sub_f16_e32 v1, v1, v12
	v_sub_f16_e32 v7, v91, v25
	v_sub_f16_e32 v3, v6, v3
	v_sub_f16_e32 v0, v4, v0
	v_sub_f16_e32 v4, v9, v10
	v_pack_b32_f16 v6, v11, v7
	v_pack_b32_f16 v2, v2, v3
	;; [unrolled: 1-line block ×4, first 2 shown]
	ds_write2_b32 v97, v6, v2 offset0:88 offset1:188
	ds_write2_b32 v101, v0, v1 offset0:32 offset1:132
	s_waitcnt lgkmcnt(0)
	s_barrier
	ds_read2_b32 v[0:1], v79 offset0:48 offset1:248
	ds_read2_b32 v[2:3], v78 offset0:16 offset1:216
	ds_read2_b32 v[4:5], v68 offset1:200
	s_mov_b32 s2, 0xd2f1a9fc
	s_mov_b32 s3, 0x3f30624d
	s_waitcnt lgkmcnt(2)
	v_lshrrev_b32_e32 v6, 16, v0
	v_mul_f16_sdwa v8, v35, v6 dst_sel:DWORD dst_unused:UNUSED_PAD src0_sel:WORD_1 src1_sel:DWORD
	v_fma_f16 v8, v35, v0, v8
	v_mul_f16_sdwa v0, v35, v0 dst_sel:DWORD dst_unused:UNUSED_PAD src0_sel:WORD_1 src1_sel:DWORD
	s_waitcnt lgkmcnt(1)
	v_lshrrev_b32_e32 v7, 16, v3
	v_fma_f16 v6, v35, v6, -v0
	v_mul_f16_sdwa v0, v36, v3 dst_sel:DWORD dst_unused:UNUSED_PAD src0_sel:WORD_1 src1_sel:DWORD
	v_fma_f16 v9, v36, v7, -v0
	v_mul_f16_sdwa v0, v36, v7 dst_sel:DWORD dst_unused:UNUSED_PAD src0_sel:WORD_1 src1_sel:DWORD
	v_fma_f16 v7, v36, v3, v0
	s_waitcnt lgkmcnt(0)
	v_lshrrev_b32_e32 v0, 16, v4
	v_mul_f16_sdwa v3, v37, v4 dst_sel:DWORD dst_unused:UNUSED_PAD src0_sel:WORD_1 src1_sel:DWORD
	v_fma_f16 v10, v37, v0, -v3
	v_mul_f16_sdwa v0, v37, v0 dst_sel:DWORD dst_unused:UNUSED_PAD src0_sel:WORD_1 src1_sel:DWORD
	v_fma_f16 v11, v37, v4, v0
	v_lshrrev_b32_e32 v0, 16, v1
	v_mul_f16_sdwa v3, v38, v0 dst_sel:DWORD dst_unused:UNUSED_PAD src0_sel:WORD_1 src1_sel:DWORD
	v_fma_f16 v12, v38, v1, v3
	v_mul_f16_sdwa v1, v38, v1 dst_sel:DWORD dst_unused:UNUSED_PAD src0_sel:WORD_1 src1_sel:DWORD
	v_fma_f16 v13, v38, v0, -v1
	ds_read2_b32 v[0:1], v72 offset0:32 offset1:232
	v_lshrrev_b32_e32 v3, 16, v5
	v_mul_f16_sdwa v4, v40, v3 dst_sel:DWORD dst_unused:UNUSED_PAD src0_sel:WORD_1 src1_sel:DWORD
	v_fma_f16 v14, v40, v5, v4
	v_mul_f16_sdwa v4, v40, v5 dst_sel:DWORD dst_unused:UNUSED_PAD src0_sel:WORD_1 src1_sel:DWORD
	v_fma_f16 v5, v40, v3, -v4
	s_waitcnt lgkmcnt(0)
	v_lshrrev_b32_e32 v3, 16, v0
	v_mul_f16_sdwa v4, v39, v0 dst_sel:DWORD dst_unused:UNUSED_PAD src0_sel:WORD_1 src1_sel:DWORD
	v_fma_f16 v15, v39, v3, -v4
	v_mul_f16_sdwa v3, v39, v3 dst_sel:DWORD dst_unused:UNUSED_PAD src0_sel:WORD_1 src1_sel:DWORD
	v_fma_f16 v16, v39, v0, v3
	v_lshrrev_b32_e32 v0, 16, v1
	ds_read2_b32 v[3:4], v77 offset1:200
	v_mul_f16_sdwa v17, v42, v0 dst_sel:DWORD dst_unused:UNUSED_PAD src0_sel:WORD_1 src1_sel:DWORD
	v_fma_f16 v17, v42, v1, v17
	v_mul_f16_sdwa v1, v42, v1 dst_sel:DWORD dst_unused:UNUSED_PAD src0_sel:WORD_1 src1_sel:DWORD
	v_fma_f16 v18, v42, v0, -v1
	ds_read2_b32 v[0:1], v66 offset0:16 offset1:216
	s_waitcnt lgkmcnt(1)
	v_lshrrev_b32_e32 v19, 16, v3
	v_mul_f16_sdwa v20, v41, v3 dst_sel:DWORD dst_unused:UNUSED_PAD src0_sel:WORD_1 src1_sel:DWORD
	v_fma_f16 v20, v41, v19, -v20
	v_mul_f16_sdwa v19, v41, v19 dst_sel:DWORD dst_unused:UNUSED_PAD src0_sel:WORD_1 src1_sel:DWORD
	v_fma_f16 v19, v41, v3, v19
	s_waitcnt lgkmcnt(0)
	v_lshrrev_b32_e32 v3, 16, v0
	v_mul_f16_sdwa v21, v43, v0 dst_sel:DWORD dst_unused:UNUSED_PAD src0_sel:WORD_1 src1_sel:DWORD
	v_fma_f16 v21, v43, v3, -v21
	v_mul_f16_sdwa v3, v43, v3 dst_sel:DWORD dst_unused:UNUSED_PAD src0_sel:WORD_1 src1_sel:DWORD
	v_fma_f16 v22, v43, v0, v3
	v_lshrrev_b32_e32 v0, 16, v4
	v_mul_f16_sdwa v3, v44, v0 dst_sel:DWORD dst_unused:UNUSED_PAD src0_sel:WORD_1 src1_sel:DWORD
	v_fma_f16 v23, v44, v4, v3
	v_mul_f16_sdwa v3, v44, v4 dst_sel:DWORD dst_unused:UNUSED_PAD src0_sel:WORD_1 src1_sel:DWORD
	v_fma_f16 v24, v44, v0, -v3
	ds_read2_b32 v[3:4], v70 offset0:48 offset1:248
	v_lshrrev_b32_e32 v0, 16, v1
	v_mul_f16_sdwa v25, v46, v0 dst_sel:DWORD dst_unused:UNUSED_PAD src0_sel:WORD_1 src1_sel:DWORD
	v_fma_f16 v25, v46, v1, v25
	v_mul_f16_sdwa v1, v46, v1 dst_sel:DWORD dst_unused:UNUSED_PAD src0_sel:WORD_1 src1_sel:DWORD
	v_fma_f16 v26, v46, v0, -v1
	s_waitcnt lgkmcnt(0)
	v_lshrrev_b32_e32 v0, 16, v3
	v_mul_f16_sdwa v1, v45, v3 dst_sel:DWORD dst_unused:UNUSED_PAD src0_sel:WORD_1 src1_sel:DWORD
	v_fma_f16 v27, v45, v0, -v1
	v_mul_f16_sdwa v0, v45, v0 dst_sel:DWORD dst_unused:UNUSED_PAD src0_sel:WORD_1 src1_sel:DWORD
	v_fma_f16 v28, v45, v3, v0
	v_lshrrev_b32_e32 v0, 16, v2
	v_mul_f16_sdwa v1, v33, v0 dst_sel:DWORD dst_unused:UNUSED_PAD src0_sel:WORD_1 src1_sel:DWORD
	v_fma_f16 v29, v33, v2, v1
	v_mul_f16_sdwa v1, v33, v2 dst_sel:DWORD dst_unused:UNUSED_PAD src0_sel:WORD_1 src1_sel:DWORD
	v_lshrrev_b32_e32 v2, 16, v4
	v_fma_f16 v30, v33, v0, -v1
	ds_read2_b32 v[0:1], v80 offset0:32 offset1:232
	v_mul_f16_sdwa v3, v34, v2 dst_sel:DWORD dst_unused:UNUSED_PAD src0_sel:WORD_1 src1_sel:DWORD
	v_fma_f16 v31, v34, v4, v3
	v_mul_f16_sdwa v3, v34, v4 dst_sel:DWORD dst_unused:UNUSED_PAD src0_sel:WORD_1 src1_sel:DWORD
	v_fma_f16 v4, v34, v2, -v3
	ds_read2_b32 v[2:3], v76 offset1:200
	s_waitcnt lgkmcnt(1)
	v_lshrrev_b32_e32 v33, 16, v1
	v_mul_f16_sdwa v34, v32, v1 dst_sel:DWORD dst_unused:UNUSED_PAD src0_sel:WORD_1 src1_sel:DWORD
	v_fma_f16 v34, v32, v33, -v34
	v_mul_f16_sdwa v33, v32, v33 dst_sel:DWORD dst_unused:UNUSED_PAD src0_sel:WORD_1 src1_sel:DWORD
	v_fma_f16 v1, v32, v1, v33
	s_waitcnt lgkmcnt(0)
	v_lshrrev_b32_e32 v32, 16, v2
	v_sub_f16_e32 v29, v2, v29
	v_sub_f16_e32 v30, v32, v30
	;; [unrolled: 1-line block ×4, first 2 shown]
	v_fma_f16 v2, v2, 2.0, -v29
	v_fma_f16 v32, v32, 2.0, -v30
	;; [unrolled: 1-line block ×4, first 2 shown]
	v_sub_f16_e32 v35, v2, v1
	v_sub_f16_e32 v34, v32, v34
	v_fma_f16 v1, v2, 2.0, -v35
	v_fma_f16 v2, v32, 2.0, -v34
	v_add_f16_e32 v4, v29, v4
	v_sub_f16_e32 v31, v30, v31
	v_lshrrev_b32_e32 v33, 16, v3
	v_pack_b32_f16 v32, v1, v2
	v_fma_f16 v1, v29, 2.0, -v4
	v_fma_f16 v2, v30, 2.0, -v31
	v_pack_b32_f16 v4, v4, v31
	v_sub_f16_e32 v7, v3, v7
	v_pack_b32_f16 v29, v1, v2
	ds_read2_b32 v[1:2], v81 offset0:16 offset1:216
	ds_write_b32 v76, v4 offset:12000
	v_sub_f16_e32 v4, v33, v9
	v_sub_f16_e32 v11, v8, v11
	v_sub_f16_e32 v10, v6, v10
	v_fma_f16 v3, v3, 2.0, -v7
	v_fma_f16 v9, v33, 2.0, -v4
	v_fma_f16 v8, v8, 2.0, -v11
	v_fma_f16 v6, v6, 2.0, -v10
	v_sub_f16_e32 v8, v3, v8
	v_sub_f16_e32 v6, v9, v6
	v_fma_f16 v3, v3, 2.0, -v8
	v_fma_f16 v9, v9, 2.0, -v6
	ds_write_b32 v76, v29 offset:4000
	v_pack_b32_f16 v29, v35, v34
	v_pack_b32_f16 v3, v3, v9
	v_add_f16_e32 v10, v7, v10
	v_sub_f16_e32 v11, v4, v11
	v_pack_b32_f16 v6, v8, v6
	ds_write_b32 v76, v29 offset:8000
	ds_write2_b32 v76, v32, v3 offset1:200
	s_waitcnt lgkmcnt(4)
	v_sub_f16_e32 v3, v1, v16
	v_sub_f16_e32 v9, v2, v17
	v_lshrrev_b32_e32 v16, 16, v1
	v_lshrrev_b32_e32 v17, 16, v2
	ds_write_b32 v76, v6 offset:8800
	v_pack_b32_f16 v6, v10, v11
	v_sub_f16_e32 v8, v12, v14
	v_lshrrev_b32_e32 v29, 16, v0
	v_fma_f16 v7, v7, 2.0, -v10
	ds_write_b32 v76, v6 offset:12800
	v_sub_f16_e32 v6, v16, v15
	v_sub_f16_e32 v5, v13, v5
	v_fma_f16 v10, v12, 2.0, -v8
	v_sub_f16_e32 v12, v17, v18
	v_sub_f16_e32 v15, v20, v21
	;; [unrolled: 1-line block ×3, first 2 shown]
	v_fma_f16 v4, v4, 2.0, -v11
	v_fma_f16 v11, v13, 2.0, -v5
	;; [unrolled: 1-line block ×3, first 2 shown]
	v_sub_f16_e32 v14, v19, v22
	v_fma_f16 v17, v20, 2.0, -v15
	v_sub_f16_e32 v18, v29, v27
	v_sub_f16_e32 v20, v23, v25
	;; [unrolled: 1-line block ×3, first 2 shown]
	v_fma_f16 v1, v1, 2.0, -v3
	v_fma_f16 v2, v2, 2.0, -v9
	;; [unrolled: 1-line block ×3, first 2 shown]
	v_pack_b32_f16 v4, v7, v4
	v_fma_f16 v7, v16, 2.0, -v6
	v_fma_f16 v16, v19, 2.0, -v14
	;; [unrolled: 1-line block ×5, first 2 shown]
	v_sub_f16_e32 v10, v1, v10
	v_sub_f16_e32 v11, v7, v11
	v_add_f16_e32 v5, v3, v5
	v_sub_f16_e32 v8, v6, v8
	v_sub_f16_e32 v16, v2, v16
	;; [unrolled: 1-line block ×5, first 2 shown]
	v_fma_f16 v1, v1, 2.0, -v10
	v_fma_f16 v7, v7, 2.0, -v11
	;; [unrolled: 1-line block ×6, first 2 shown]
	v_add_f16_e32 v15, v9, v15
	v_sub_f16_e32 v14, v12, v14
	v_fma_f16 v0, v0, 2.0, -v22
	v_fma_f16 v19, v19, 2.0, -v23
	v_add_f16_e32 v21, v28, v21
	v_sub_f16_e32 v20, v18, v20
	v_fma_f16 v9, v9, 2.0, -v15
	v_fma_f16 v12, v12, 2.0, -v14
	;; [unrolled: 1-line block ×4, first 2 shown]
	v_pack_b32_f16 v1, v1, v7
	v_pack_b32_f16 v3, v3, v6
	v_pack_b32_f16 v2, v2, v13
	v_pack_b32_f16 v0, v0, v19
	ds_write2_b32 v79, v4, v3 offset0:48 offset1:248
	ds_write2_b32 v81, v1, v2 offset0:16 offset1:216
	v_pack_b32_f16 v1, v9, v12
	ds_write_b32 v76, v0 offset:3200
	v_pack_b32_f16 v0, v24, v18
	v_pack_b32_f16 v3, v10, v11
	;; [unrolled: 1-line block ×3, first 2 shown]
	ds_write2_b32 v77, v1, v0 offset1:200
	v_pack_b32_f16 v0, v22, v23
	v_pack_b32_f16 v4, v5, v8
	ds_write2_b32 v72, v3, v2 offset0:32 offset1:232
	v_pack_b32_f16 v2, v15, v14
	ds_write_b32 v76, v0 offset:11200
	v_pack_b32_f16 v0, v21, v20
	ds_write2_b32 v102, v4, v2 offset0:8 offset1:208
	ds_write_b32 v76, v0 offset:15200
	s_waitcnt lgkmcnt(0)
	s_barrier
	ds_read2_b32 v[0:1], v76 offset1:200
	v_mad_u64_u32 v[4:5], s[0:1], s10, v47, 0
	s_movk_i32 s6, 0x1ff
	s_movk_i32 s7, 0xffe
	s_waitcnt lgkmcnt(0)
	v_lshrrev_b32_e32 v7, 16, v0
	v_mul_f16_sdwa v2, v75, v7 dst_sel:DWORD dst_unused:UNUSED_PAD src0_sel:WORD_1 src1_sel:DWORD
	v_fma_f16 v2, v75, v0, v2
	v_cvt_f32_f16_e32 v2, v2
	v_mad_u64_u32 v[5:6], s[0:1], s11, v47, v[5:6]
	v_mul_f16_sdwa v0, v75, v0 dst_sel:DWORD dst_unused:UNUSED_PAD src0_sel:WORD_1 src1_sel:DWORD
	v_cvt_f64_f32_e32 v[2:3], v2
	v_fma_f16 v0, v75, v7, -v0
	v_cvt_f32_f16_e32 v7, v0
	v_mov_b32_e32 v0, 0x7c00
	v_mul_f64 v[2:3], v[2:3], s[2:3]
	s_movk_i32 s10, 0x40f
	s_mov_b32 s11, 0x8000
	v_lshlrev_b64 v[4:5], 2, v[4:5]
	v_and_or_b32 v2, v3, s6, v2
	v_cmp_ne_u32_e32 vcc, 0, v2
	v_cndmask_b32_e64 v2, 0, 1, vcc
	v_lshrrev_b32_e32 v6, 8, v3
	v_bfe_u32 v8, v3, 20, 11
	v_and_or_b32 v2, v6, s7, v2
	v_sub_u32_e32 v9, 0x3f1, v8
	v_or_b32_e32 v6, 0x1000, v2
	v_med3_i32 v9, v9, 0, 13
	v_lshrrev_b32_e32 v10, v9, v6
	v_lshlrev_b32_e32 v9, v9, v10
	v_cmp_ne_u32_e32 vcc, v9, v6
	v_cndmask_b32_e64 v6, 0, 1, vcc
	v_add_u32_e32 v8, 0xfffffc10, v8
	v_or_b32_e32 v6, v10, v6
	v_lshl_or_b32 v9, v8, 12, v2
	v_cmp_gt_i32_e32 vcc, 1, v8
	v_cndmask_b32_e32 v6, v9, v6, vcc
	v_and_b32_e32 v9, 7, v6
	v_cmp_lt_i32_e32 vcc, 5, v9
	v_cmp_eq_u32_e64 s[0:1], 3, v9
	v_lshrrev_b32_e32 v6, 2, v6
	s_or_b64 vcc, s[0:1], vcc
	v_addc_co_u32_e32 v9, vcc, 0, v6, vcc
	v_cvt_f64_f32_e32 v[6:7], v7
	v_cmp_gt_i32_e32 vcc, 31, v8
	v_cndmask_b32_e32 v9, v0, v9, vcc
	v_cmp_ne_u32_e32 vcc, 0, v2
	v_mul_f64 v[6:7], v[6:7], s[2:3]
	v_cndmask_b32_e64 v2, 0, 1, vcc
	v_lshl_or_b32 v2, v2, 9, v0
	v_cmp_eq_u32_e32 vcc, s10, v8
	v_cndmask_b32_e32 v2, v9, v2, vcc
	v_lshrrev_b32_e32 v3, 16, v3
	v_and_or_b32 v10, v3, s11, v2
	v_and_b32_e32 v10, 0xffff, v10
	v_and_or_b32 v2, v7, s6, v6
	v_cmp_ne_u32_e32 vcc, 0, v2
	v_cndmask_b32_e64 v2, 0, 1, vcc
	v_lshrrev_b32_e32 v3, 8, v7
	v_bfe_u32 v6, v7, 20, 11
	v_and_or_b32 v2, v3, s7, v2
	v_sub_u32_e32 v8, 0x3f1, v6
	v_or_b32_e32 v3, 0x1000, v2
	v_med3_i32 v8, v8, 0, 13
	v_lshrrev_b32_e32 v9, v8, v3
	v_lshlrev_b32_e32 v8, v8, v9
	v_cmp_ne_u32_e32 vcc, v8, v3
	v_cndmask_b32_e64 v3, 0, 1, vcc
	v_add_u32_e32 v6, 0xfffffc10, v6
	v_or_b32_e32 v3, v9, v3
	v_lshl_or_b32 v8, v6, 12, v2
	v_cmp_gt_i32_e32 vcc, 1, v6
	v_cndmask_b32_e32 v3, v8, v3, vcc
	v_and_b32_e32 v8, 7, v3
	v_cmp_lt_i32_e32 vcc, 5, v8
	v_cmp_eq_u32_e64 s[0:1], 3, v8
	v_lshrrev_b32_e32 v3, 2, v3
	s_or_b64 vcc, s[0:1], vcc
	v_addc_co_u32_e32 v3, vcc, 0, v3, vcc
	v_cmp_gt_i32_e32 vcc, 31, v6
	v_cndmask_b32_e32 v3, v0, v3, vcc
	v_cmp_ne_u32_e32 vcc, 0, v2
	v_cndmask_b32_e64 v2, 0, 1, vcc
	v_lshl_or_b32 v2, v2, 9, v0
	v_cmp_eq_u32_e32 vcc, s10, v6
	v_mad_u64_u32 v[8:9], s[0:1], s8, v74, 0
	v_cndmask_b32_e32 v11, v3, v2, vcc
	ds_read2_b32 v[2:3], v81 offset0:16 offset1:216
	v_mov_b32_e32 v6, v9
	v_lshrrev_b32_e32 v12, 16, v7
	v_mad_u64_u32 v[6:7], s[0:1], s9, v74, v[6:7]
	s_waitcnt lgkmcnt(0)
	v_lshrrev_b32_e32 v13, 16, v2
	v_mul_f16_sdwa v7, v73, v13 dst_sel:DWORD dst_unused:UNUSED_PAD src0_sel:WORD_1 src1_sel:DWORD
	v_fma_f16 v7, v73, v2, v7
	v_cvt_f32_f16_e32 v7, v7
	v_mov_b32_e32 v9, v6
	v_and_or_b32 v11, v12, s11, v11
	v_lshl_or_b32 v10, v11, 16, v10
	v_cvt_f64_f32_e32 v[6:7], v7
	v_mov_b32_e32 v11, s5
	v_add_co_u32_e32 v12, vcc, s4, v4
	v_mul_f64 v[6:7], v[6:7], s[2:3]
	v_addc_co_u32_e32 v11, vcc, v11, v5, vcc
	v_lshlrev_b64 v[4:5], 2, v[8:9]
	v_mul_f16_sdwa v2, v73, v2 dst_sel:DWORD dst_unused:UNUSED_PAD src0_sel:WORD_1 src1_sel:DWORD
	v_add_co_u32_e32 v8, vcc, v12, v4
	v_addc_co_u32_e32 v9, vcc, v11, v5, vcc
	v_and_or_b32 v4, v7, s6, v6
	v_cmp_ne_u32_e32 vcc, 0, v4
	v_cndmask_b32_e64 v4, 0, 1, vcc
	v_lshrrev_b32_e32 v5, 8, v7
	global_store_dword v[8:9], v10, off
	v_and_or_b32 v10, v5, s7, v4
	v_bfe_u32 v5, v7, 20, 11
	v_sub_u32_e32 v6, 0x3f1, v5
	v_or_b32_e32 v4, 0x1000, v10
	v_med3_i32 v6, v6, 0, 13
	v_lshrrev_b32_e32 v11, v6, v4
	v_lshlrev_b32_e32 v6, v6, v11
	v_cmp_ne_u32_e32 vcc, v6, v4
	v_cndmask_b32_e64 v4, 0, 1, vcc
	v_fma_f16 v2, v73, v13, -v2
	v_or_b32_e32 v4, v11, v4
	v_add_u32_e32 v11, 0xfffffc10, v5
	v_cvt_f32_f16_e32 v2, v2
	v_lshl_or_b32 v5, v11, 12, v10
	v_cmp_gt_i32_e32 vcc, 1, v11
	v_cndmask_b32_e32 v4, v5, v4, vcc
	v_and_b32_e32 v5, 7, v4
	v_cmp_lt_i32_e32 vcc, 5, v5
	v_cmp_eq_u32_e64 s[0:1], 3, v5
	v_lshrrev_b32_e32 v6, 2, v4
	v_cvt_f64_f32_e32 v[4:5], v2
	s_or_b64 vcc, s[0:1], vcc
	v_addc_co_u32_e32 v2, vcc, 0, v6, vcc
	v_mul_f64 v[5:6], v[4:5], s[2:3]
	v_cmp_gt_i32_e32 vcc, 31, v11
	v_cndmask_b32_e32 v2, v0, v2, vcc
	v_cmp_ne_u32_e32 vcc, 0, v10
	v_cndmask_b32_e64 v4, 0, 1, vcc
	v_lshl_or_b32 v4, v4, 9, v0
	v_cmp_eq_u32_e32 vcc, s10, v11
	v_cndmask_b32_e32 v2, v2, v4, vcc
	v_lshrrev_b32_e32 v4, 16, v7
	v_and_or_b32 v2, v4, s11, v2
	v_and_or_b32 v4, v6, s6, v5
	v_cmp_ne_u32_e32 vcc, 0, v4
	v_cndmask_b32_e64 v4, 0, 1, vcc
	v_lshrrev_b32_e32 v5, 8, v6
	v_bfe_u32 v7, v6, 20, 11
	v_and_or_b32 v4, v5, s7, v4
	v_sub_u32_e32 v10, 0x3f1, v7
	v_or_b32_e32 v5, 0x1000, v4
	v_med3_i32 v10, v10, 0, 13
	v_lshrrev_b32_e32 v11, v10, v5
	v_lshlrev_b32_e32 v10, v10, v11
	v_cmp_ne_u32_e32 vcc, v10, v5
	v_cndmask_b32_e64 v5, 0, 1, vcc
	v_add_u32_e32 v7, 0xfffffc10, v7
	v_or_b32_e32 v5, v11, v5
	v_lshl_or_b32 v10, v7, 12, v4
	v_cmp_gt_i32_e32 vcc, 1, v7
	v_cndmask_b32_e32 v5, v10, v5, vcc
	v_and_b32_e32 v10, 7, v5
	v_cmp_lt_i32_e32 vcc, 5, v10
	v_cmp_eq_u32_e64 s[0:1], 3, v10
	v_lshrrev_b32_e32 v5, 2, v5
	s_or_b64 vcc, s[0:1], vcc
	v_addc_co_u32_e32 v5, vcc, 0, v5, vcc
	v_cmp_gt_i32_e32 vcc, 31, v7
	v_cndmask_b32_e32 v10, v0, v5, vcc
	v_cmp_ne_u32_e32 vcc, 0, v4
	ds_read2_b32 v[4:5], v80 offset0:32 offset1:232
	v_cndmask_b32_e64 v11, 0, 1, vcc
	v_lshl_or_b32 v11, v11, 9, v0
	v_cmp_eq_u32_e32 vcc, s10, v7
	v_cndmask_b32_e32 v7, v10, v11, vcc
	s_waitcnt lgkmcnt(0)
	v_lshrrev_b32_e32 v10, 16, v4
	v_mul_f16_sdwa v11, v71, v10 dst_sel:DWORD dst_unused:UNUSED_PAD src0_sel:WORD_1 src1_sel:DWORD
	v_fma_f16 v11, v71, v4, v11
	v_cvt_f32_f16_e32 v11, v11
	v_lshrrev_b32_e32 v6, 16, v6
	v_and_or_b32 v6, v6, s11, v7
	v_and_b32_e32 v2, 0xffff, v2
	v_lshl_or_b32 v2, v6, 16, v2
	v_cvt_f64_f32_e32 v[6:7], v11
	s_mul_i32 s0, s9, 0x640
	s_mul_hi_u32 s4, s8, 0x640
	s_add_i32 s4, s4, s0
	v_mul_f64 v[6:7], v[6:7], s[2:3]
	s_mul_i32 s5, s8, 0x640
	v_mov_b32_e32 v11, s4
	v_add_co_u32_e32 v8, vcc, s5, v8
	v_addc_co_u32_e32 v9, vcc, v9, v11, vcc
	global_store_dword v[8:9], v2, off
	v_and_or_b32 v2, v7, s6, v6
	v_cmp_ne_u32_e32 vcc, 0, v2
	v_cndmask_b32_e64 v2, 0, 1, vcc
	v_lshrrev_b32_e32 v6, 8, v7
	v_bfe_u32 v11, v7, 20, 11
	v_and_or_b32 v2, v6, s7, v2
	v_sub_u32_e32 v12, 0x3f1, v11
	v_or_b32_e32 v6, 0x1000, v2
	v_med3_i32 v12, v12, 0, 13
	v_lshrrev_b32_e32 v13, v12, v6
	v_lshlrev_b32_e32 v12, v12, v13
	v_mul_f16_sdwa v4, v71, v4 dst_sel:DWORD dst_unused:UNUSED_PAD src0_sel:WORD_1 src1_sel:DWORD
	v_cmp_ne_u32_e32 vcc, v12, v6
	v_fma_f16 v4, v71, v10, -v4
	v_cndmask_b32_e64 v6, 0, 1, vcc
	v_add_u32_e32 v12, 0xfffffc10, v11
	v_cvt_f32_f16_e32 v4, v4
	v_or_b32_e32 v6, v13, v6
	v_lshl_or_b32 v11, v12, 12, v2
	v_cmp_gt_i32_e32 vcc, 1, v12
	v_cndmask_b32_e32 v6, v11, v6, vcc
	v_and_b32_e32 v11, 7, v6
	v_cmp_lt_i32_e32 vcc, 5, v11
	v_cmp_eq_u32_e64 s[0:1], 3, v11
	v_cvt_f64_f32_e32 v[10:11], v4
	v_lshrrev_b32_e32 v6, 2, v6
	s_or_b64 vcc, s[0:1], vcc
	v_addc_co_u32_e32 v4, vcc, 0, v6, vcc
	v_mul_f64 v[10:11], v[10:11], s[2:3]
	v_cmp_gt_i32_e32 vcc, 31, v12
	v_cndmask_b32_e32 v4, v0, v4, vcc
	v_cmp_ne_u32_e32 vcc, 0, v2
	v_cndmask_b32_e64 v2, 0, 1, vcc
	v_lshl_or_b32 v2, v2, 9, v0
	v_cmp_eq_u32_e32 vcc, s10, v12
	v_cndmask_b32_e32 v2, v4, v2, vcc
	v_lshrrev_b32_e32 v4, 16, v7
	v_and_or_b32 v2, v4, s11, v2
	v_and_or_b32 v4, v11, s6, v10
	v_cmp_ne_u32_e32 vcc, 0, v4
	v_cndmask_b32_e64 v4, 0, 1, vcc
	v_lshrrev_b32_e32 v6, 8, v11
	v_bfe_u32 v7, v11, 20, 11
	v_and_or_b32 v4, v6, s7, v4
	v_sub_u32_e32 v10, 0x3f1, v7
	v_or_b32_e32 v6, 0x1000, v4
	v_med3_i32 v10, v10, 0, 13
	v_lshrrev_b32_e32 v12, v10, v6
	v_lshlrev_b32_e32 v10, v10, v12
	v_cmp_ne_u32_e32 vcc, v10, v6
	v_cndmask_b32_e64 v6, 0, 1, vcc
	v_add_u32_e32 v10, 0xfffffc10, v7
	v_or_b32_e32 v6, v12, v6
	v_lshl_or_b32 v7, v10, 12, v4
	v_cmp_gt_i32_e32 vcc, 1, v10
	v_cndmask_b32_e32 v6, v7, v6, vcc
	v_and_b32_e32 v7, 7, v6
	v_cmp_lt_i32_e32 vcc, 5, v7
	v_cmp_eq_u32_e64 s[0:1], 3, v7
	v_lshrrev_b32_e32 v6, 2, v6
	s_or_b64 vcc, s[0:1], vcc
	v_addc_co_u32_e32 v12, vcc, 0, v6, vcc
	ds_read2_b32 v[6:7], v79 offset0:48 offset1:248
	v_cmp_gt_i32_e32 vcc, 31, v10
	v_cndmask_b32_e32 v12, v0, v12, vcc
	v_cmp_ne_u32_e32 vcc, 0, v4
	v_cndmask_b32_e64 v4, 0, 1, vcc
	s_waitcnt lgkmcnt(0)
	v_lshrrev_b32_e32 v14, 16, v6
	v_mul_f16_sdwa v13, v69, v14 dst_sel:DWORD dst_unused:UNUSED_PAD src0_sel:WORD_1 src1_sel:DWORD
	v_fma_f16 v13, v69, v6, v13
	v_cvt_f32_f16_e32 v13, v13
	v_lshl_or_b32 v4, v4, 9, v0
	v_cmp_eq_u32_e32 vcc, s10, v10
	v_cndmask_b32_e32 v4, v12, v4, vcc
	v_cvt_f64_f32_e32 v[12:13], v13
	v_lshrrev_b32_e32 v10, 16, v11
	v_and_or_b32 v4, v10, s11, v4
	v_and_b32_e32 v2, 0xffff, v2
	v_mul_f64 v[10:11], v[12:13], s[2:3]
	v_lshl_or_b32 v2, v4, 16, v2
	v_mov_b32_e32 v4, s4
	v_add_co_u32_e32 v12, vcc, s5, v8
	v_addc_co_u32_e32 v13, vcc, v9, v4, vcc
	global_store_dword v[12:13], v2, off
	v_and_or_b32 v2, v11, s6, v10
	v_cmp_ne_u32_e32 vcc, 0, v2
	v_cndmask_b32_e64 v2, 0, 1, vcc
	v_lshrrev_b32_e32 v4, 8, v11
	v_bfe_u32 v8, v11, 20, 11
	v_and_or_b32 v2, v4, s7, v2
	v_sub_u32_e32 v9, 0x3f1, v8
	v_or_b32_e32 v4, 0x1000, v2
	v_med3_i32 v9, v9, 0, 13
	v_lshrrev_b32_e32 v10, v9, v4
	v_lshlrev_b32_e32 v9, v9, v10
	v_mul_f16_sdwa v6, v69, v6 dst_sel:DWORD dst_unused:UNUSED_PAD src0_sel:WORD_1 src1_sel:DWORD
	v_cmp_ne_u32_e32 vcc, v9, v4
	v_fma_f16 v6, v69, v14, -v6
	v_cndmask_b32_e64 v4, 0, 1, vcc
	v_add_u32_e32 v15, 0xfffffc10, v8
	v_cvt_f32_f16_e32 v6, v6
	v_or_b32_e32 v4, v10, v4
	v_lshl_or_b32 v8, v15, 12, v2
	v_cmp_gt_i32_e32 vcc, 1, v15
	v_cndmask_b32_e32 v4, v8, v4, vcc
	v_and_b32_e32 v8, 7, v4
	v_cmp_lt_i32_e32 vcc, 5, v8
	v_cmp_eq_u32_e64 s[0:1], 3, v8
	v_cvt_f64_f32_e32 v[8:9], v6
	v_lshrrev_b32_e32 v4, 2, v4
	s_or_b64 vcc, s[0:1], vcc
	v_addc_co_u32_e32 v4, vcc, 0, v4, vcc
	v_mul_f64 v[9:10], v[8:9], s[2:3]
	v_cmp_gt_i32_e32 vcc, 31, v15
	v_cndmask_b32_e32 v4, v0, v4, vcc
	v_cmp_ne_u32_e32 vcc, 0, v2
	v_cndmask_b32_e64 v2, 0, 1, vcc
	v_lshl_or_b32 v2, v2, 9, v0
	v_cmp_eq_u32_e32 vcc, s10, v15
	v_cndmask_b32_e32 v2, v4, v2, vcc
	v_lshrrev_b32_e32 v4, 16, v11
	v_and_or_b32 v2, v4, s11, v2
	v_and_or_b32 v4, v10, s6, v9
	v_cmp_ne_u32_e32 vcc, 0, v4
	v_cndmask_b32_e64 v4, 0, 1, vcc
	v_lshrrev_b32_e32 v6, 8, v10
	v_bfe_u32 v8, v10, 20, 11
	v_and_or_b32 v4, v6, s7, v4
	v_sub_u32_e32 v9, 0x3f1, v8
	v_or_b32_e32 v6, 0x1000, v4
	v_med3_i32 v9, v9, 0, 13
	v_lshrrev_b32_e32 v11, v9, v6
	v_lshlrev_b32_e32 v9, v9, v11
	v_cmp_ne_u32_e32 vcc, v9, v6
	v_cndmask_b32_e64 v6, 0, 1, vcc
	v_or_b32_e32 v6, v11, v6
	v_add_u32_e32 v11, 0xfffffc10, v8
	v_lshl_or_b32 v8, v11, 12, v4
	v_cmp_gt_i32_e32 vcc, 1, v11
	v_cndmask_b32_e32 v6, v8, v6, vcc
	v_and_b32_e32 v8, 7, v6
	v_cmp_lt_i32_e32 vcc, 5, v8
	v_cmp_eq_u32_e64 s[0:1], 3, v8
	ds_read2_b32 v[8:9], v77 offset1:200
	v_lshrrev_b32_e32 v6, 2, v6
	s_or_b64 vcc, s[0:1], vcc
	v_addc_co_u32_e32 v6, vcc, 0, v6, vcc
	s_waitcnt lgkmcnt(0)
	v_lshrrev_b32_e32 v16, 16, v8
	v_mul_f16_sdwa v14, v67, v16 dst_sel:DWORD dst_unused:UNUSED_PAD src0_sel:WORD_1 src1_sel:DWORD
	v_fma_f16 v14, v67, v8, v14
	v_cvt_f32_f16_e32 v14, v14
	v_cmp_gt_i32_e32 vcc, 31, v11
	v_cndmask_b32_e32 v6, v0, v6, vcc
	v_cmp_ne_u32_e32 vcc, 0, v4
	v_cvt_f64_f32_e32 v[14:15], v14
	v_cndmask_b32_e64 v4, 0, 1, vcc
	v_lshl_or_b32 v4, v4, 9, v0
	v_cmp_eq_u32_e32 vcc, s10, v11
	v_cndmask_b32_e32 v4, v6, v4, vcc
	v_lshrrev_b32_e32 v6, 16, v10
	v_mul_f64 v[10:11], v[14:15], s[2:3]
	v_and_or_b32 v4, v6, s11, v4
	v_and_b32_e32 v2, 0xffff, v2
	v_lshl_or_b32 v2, v4, 16, v2
	v_mov_b32_e32 v4, s4
	v_add_co_u32_e32 v12, vcc, s5, v12
	v_addc_co_u32_e32 v13, vcc, v13, v4, vcc
	global_store_dword v[12:13], v2, off
	v_and_or_b32 v2, v11, s6, v10
	v_cmp_ne_u32_e32 vcc, 0, v2
	v_cndmask_b32_e64 v2, 0, 1, vcc
	v_lshrrev_b32_e32 v4, 8, v11
	v_bfe_u32 v6, v11, 20, 11
	v_and_or_b32 v2, v4, s7, v2
	v_sub_u32_e32 v10, 0x3f1, v6
	v_mul_f16_sdwa v8, v67, v8 dst_sel:DWORD dst_unused:UNUSED_PAD src0_sel:WORD_1 src1_sel:DWORD
	v_or_b32_e32 v4, 0x1000, v2
	v_med3_i32 v10, v10, 0, 13
	v_fma_f16 v8, v67, v16, -v8
	v_lshrrev_b32_e32 v14, v10, v4
	v_cvt_f32_f16_e32 v8, v8
	v_lshlrev_b32_e32 v10, v10, v14
	v_cmp_ne_u32_e32 vcc, v10, v4
	v_cndmask_b32_e64 v4, 0, 1, vcc
	v_or_b32_e32 v4, v14, v4
	v_add_u32_e32 v6, 0xfffffc10, v6
	v_cvt_f64_f32_e32 v[14:15], v8
	v_lshl_or_b32 v10, v6, 12, v2
	v_cmp_gt_i32_e32 vcc, 1, v6
	v_cndmask_b32_e32 v4, v10, v4, vcc
	v_and_b32_e32 v10, 7, v4
	v_cmp_lt_i32_e32 vcc, 5, v10
	v_cmp_eq_u32_e64 s[0:1], 3, v10
	v_mul_f64 v[14:15], v[14:15], s[2:3]
	v_lshrrev_b32_e32 v4, 2, v4
	s_or_b64 vcc, s[0:1], vcc
	v_addc_co_u32_e32 v4, vcc, 0, v4, vcc
	v_cmp_gt_i32_e32 vcc, 31, v6
	v_cndmask_b32_e32 v4, v0, v4, vcc
	v_cmp_ne_u32_e32 vcc, 0, v2
	v_cndmask_b32_e64 v2, 0, 1, vcc
	v_lshl_or_b32 v2, v2, 9, v0
	v_cmp_eq_u32_e32 vcc, s10, v6
	v_cndmask_b32_e32 v2, v4, v2, vcc
	v_lshrrev_b32_e32 v4, 16, v11
	v_and_or_b32 v2, v4, s11, v2
	v_and_or_b32 v4, v15, s6, v14
	v_cmp_ne_u32_e32 vcc, 0, v4
	v_cndmask_b32_e64 v4, 0, 1, vcc
	v_lshrrev_b32_e32 v6, 8, v15
	v_bfe_u32 v8, v15, 20, 11
	v_and_or_b32 v4, v6, s7, v4
	v_sub_u32_e32 v10, 0x3f1, v8
	v_or_b32_e32 v6, 0x1000, v4
	v_med3_i32 v10, v10, 0, 13
	v_lshrrev_b32_e32 v11, v10, v6
	v_lshlrev_b32_e32 v10, v10, v11
	v_cmp_ne_u32_e32 vcc, v10, v6
	v_cndmask_b32_e64 v6, 0, 1, vcc
	v_add_u32_e32 v8, 0xfffffc10, v8
	v_or_b32_e32 v6, v11, v6
	v_lshl_or_b32 v10, v8, 12, v4
	v_cmp_gt_i32_e32 vcc, 1, v8
	v_cndmask_b32_e32 v6, v10, v6, vcc
	v_and_b32_e32 v10, 7, v6
	v_cmp_lt_i32_e32 vcc, 5, v10
	v_cmp_eq_u32_e64 s[0:1], 3, v10
	ds_read2_b32 v[10:11], v78 offset0:16 offset1:216
	v_lshrrev_b32_e32 v6, 2, v6
	s_or_b64 vcc, s[0:1], vcc
	v_addc_co_u32_e32 v6, vcc, 0, v6, vcc
	s_waitcnt lgkmcnt(0)
	v_lshrrev_b32_e32 v18, 16, v10
	v_mul_f16_sdwa v14, v65, v18 dst_sel:DWORD dst_unused:UNUSED_PAD src0_sel:WORD_1 src1_sel:DWORD
	v_fma_f16 v14, v65, v10, v14
	v_cvt_f32_f16_e32 v14, v14
	v_cmp_gt_i32_e32 vcc, 31, v8
	v_cndmask_b32_e32 v6, v0, v6, vcc
	v_cmp_ne_u32_e32 vcc, 0, v4
	v_cvt_f64_f32_e32 v[16:17], v14
	v_cndmask_b32_e64 v4, 0, 1, vcc
	v_lshl_or_b32 v4, v4, 9, v0
	v_cmp_eq_u32_e32 vcc, s10, v8
	v_cndmask_b32_e32 v4, v6, v4, vcc
	v_lshrrev_b32_e32 v6, 16, v15
	v_mul_f64 v[14:15], v[16:17], s[2:3]
	v_and_or_b32 v4, v6, s11, v4
	v_and_b32_e32 v2, 0xffff, v2
	v_lshl_or_b32 v2, v4, 16, v2
	v_mov_b32_e32 v4, s4
	v_add_co_u32_e32 v16, vcc, s5, v12
	v_addc_co_u32_e32 v17, vcc, v13, v4, vcc
	global_store_dword v[16:17], v2, off
	v_and_or_b32 v2, v15, s6, v14
	v_cmp_ne_u32_e32 vcc, 0, v2
	v_cndmask_b32_e64 v2, 0, 1, vcc
	v_lshrrev_b32_e32 v4, 8, v15
	v_bfe_u32 v6, v15, 20, 11
	v_and_or_b32 v2, v4, s7, v2
	v_sub_u32_e32 v8, 0x3f1, v6
	v_mul_f16_sdwa v10, v65, v10 dst_sel:DWORD dst_unused:UNUSED_PAD src0_sel:WORD_1 src1_sel:DWORD
	v_or_b32_e32 v4, 0x1000, v2
	v_med3_i32 v8, v8, 0, 13
	v_fma_f16 v10, v65, v18, -v10
	v_lshrrev_b32_e32 v12, v8, v4
	v_cvt_f32_f16_e32 v10, v10
	v_lshlrev_b32_e32 v8, v8, v12
	v_cmp_ne_u32_e32 vcc, v8, v4
	v_cndmask_b32_e64 v4, 0, 1, vcc
	v_or_b32_e32 v4, v12, v4
	v_add_u32_e32 v6, 0xfffffc10, v6
	v_cvt_f64_f32_e32 v[12:13], v10
	v_lshl_or_b32 v8, v6, 12, v2
	v_cmp_gt_i32_e32 vcc, 1, v6
	v_cndmask_b32_e32 v4, v8, v4, vcc
	v_and_b32_e32 v8, 7, v4
	v_cmp_lt_i32_e32 vcc, 5, v8
	v_cmp_eq_u32_e64 s[0:1], 3, v8
	v_mul_f64 v[13:14], v[12:13], s[2:3]
	v_lshrrev_b32_e32 v4, 2, v4
	s_or_b64 vcc, s[0:1], vcc
	v_addc_co_u32_e32 v4, vcc, 0, v4, vcc
	v_cmp_gt_i32_e32 vcc, 31, v6
	v_cndmask_b32_e32 v4, v0, v4, vcc
	v_cmp_ne_u32_e32 vcc, 0, v2
	v_cndmask_b32_e64 v2, 0, 1, vcc
	v_lshl_or_b32 v2, v2, 9, v0
	v_cmp_eq_u32_e32 vcc, s10, v6
	v_cndmask_b32_e32 v2, v4, v2, vcc
	v_lshrrev_b32_e32 v4, 16, v15
	v_and_or_b32 v2, v4, s11, v2
	v_and_or_b32 v4, v14, s6, v13
	v_cmp_ne_u32_e32 vcc, 0, v4
	v_cndmask_b32_e64 v4, 0, 1, vcc
	v_lshrrev_b32_e32 v6, 8, v14
	v_bfe_u32 v8, v14, 20, 11
	v_and_or_b32 v4, v6, s7, v4
	v_sub_u32_e32 v10, 0x3f1, v8
	v_or_b32_e32 v6, 0x1000, v4
	v_med3_i32 v10, v10, 0, 13
	v_lshrrev_b32_e32 v12, v10, v6
	v_lshlrev_b32_e32 v10, v10, v12
	v_cmp_ne_u32_e32 vcc, v10, v6
	v_cndmask_b32_e64 v6, 0, 1, vcc
	v_or_b32_e32 v6, v12, v6
	ds_read2_b32 v[12:13], v72 offset0:32 offset1:232
	v_add_u32_e32 v8, 0xfffffc10, v8
	v_lshl_or_b32 v10, v8, 12, v4
	v_cmp_gt_i32_e32 vcc, 1, v8
	v_cndmask_b32_e32 v6, v10, v6, vcc
	v_and_b32_e32 v10, 7, v6
	v_cmp_lt_i32_e32 vcc, 5, v10
	v_cmp_eq_u32_e64 s[0:1], 3, v10
	s_waitcnt lgkmcnt(0)
	v_lshrrev_b32_e32 v10, 16, v12
	v_mul_f16_sdwa v15, v62, v10 dst_sel:DWORD dst_unused:UNUSED_PAD src0_sel:WORD_1 src1_sel:DWORD
	v_fma_f16 v15, v62, v12, v15
	v_cvt_f32_f16_e32 v15, v15
	v_lshrrev_b32_e32 v6, 2, v6
	s_or_b64 vcc, s[0:1], vcc
	v_addc_co_u32_e32 v6, vcc, 0, v6, vcc
	v_cmp_gt_i32_e32 vcc, 31, v8
	v_cvt_f64_f32_e32 v[18:19], v15
	v_cndmask_b32_e32 v6, v0, v6, vcc
	v_cmp_ne_u32_e32 vcc, 0, v4
	v_cndmask_b32_e64 v4, 0, 1, vcc
	v_lshl_or_b32 v4, v4, 9, v0
	v_cmp_eq_u32_e32 vcc, s10, v8
	v_cndmask_b32_e32 v4, v6, v4, vcc
	v_lshrrev_b32_e32 v6, 16, v14
	v_mul_f64 v[14:15], v[18:19], s[2:3]
	v_and_or_b32 v4, v6, s11, v4
	v_and_b32_e32 v2, 0xffff, v2
	v_lshl_or_b32 v2, v4, 16, v2
	v_mov_b32_e32 v4, s4
	v_add_co_u32_e32 v16, vcc, s5, v16
	v_addc_co_u32_e32 v17, vcc, v17, v4, vcc
	global_store_dword v[16:17], v2, off
	v_and_or_b32 v2, v15, s6, v14
	v_cmp_ne_u32_e32 vcc, 0, v2
	v_cndmask_b32_e64 v2, 0, 1, vcc
	v_lshrrev_b32_e32 v4, 8, v15
	v_bfe_u32 v6, v15, 20, 11
	v_mul_f16_sdwa v12, v62, v12 dst_sel:DWORD dst_unused:UNUSED_PAD src0_sel:WORD_1 src1_sel:DWORD
	v_and_or_b32 v2, v4, s7, v2
	v_sub_u32_e32 v8, 0x3f1, v6
	v_fma_f16 v10, v62, v10, -v12
	v_or_b32_e32 v4, 0x1000, v2
	v_med3_i32 v8, v8, 0, 13
	v_cvt_f32_f16_e32 v10, v10
	v_lshrrev_b32_e32 v14, v8, v4
	v_lshlrev_b32_e32 v8, v8, v14
	v_cmp_ne_u32_e32 vcc, v8, v4
	v_cndmask_b32_e64 v4, 0, 1, vcc
	v_add_u32_e32 v6, 0xfffffc10, v6
	v_cvt_f64_f32_e32 v[18:19], v10
	v_or_b32_e32 v4, v14, v4
	v_lshl_or_b32 v8, v6, 12, v2
	v_cmp_gt_i32_e32 vcc, 1, v6
	v_cndmask_b32_e32 v4, v8, v4, vcc
	v_and_b32_e32 v8, 7, v4
	v_cmp_lt_i32_e32 vcc, 5, v8
	v_cmp_eq_u32_e64 s[0:1], 3, v8
	v_mul_f64 v[18:19], v[18:19], s[2:3]
	v_lshrrev_b32_e32 v4, 2, v4
	s_or_b64 vcc, s[0:1], vcc
	v_addc_co_u32_e32 v4, vcc, 0, v4, vcc
	v_cmp_gt_i32_e32 vcc, 31, v6
	v_cndmask_b32_e32 v4, v0, v4, vcc
	v_cmp_ne_u32_e32 vcc, 0, v2
	v_cndmask_b32_e64 v2, 0, 1, vcc
	v_lshl_or_b32 v2, v2, 9, v0
	v_cmp_eq_u32_e32 vcc, s10, v6
	v_cndmask_b32_e32 v2, v4, v2, vcc
	v_lshrrev_b32_e32 v4, 16, v15
	v_and_or_b32 v2, v4, s11, v2
	v_and_or_b32 v4, v19, s6, v18
	v_cmp_ne_u32_e32 vcc, 0, v4
	v_cndmask_b32_e64 v4, 0, 1, vcc
	v_lshrrev_b32_e32 v6, 8, v19
	v_bfe_u32 v8, v19, 20, 11
	v_and_or_b32 v4, v6, s7, v4
	v_sub_u32_e32 v10, 0x3f1, v8
	v_or_b32_e32 v6, 0x1000, v4
	v_med3_i32 v10, v10, 0, 13
	v_lshrrev_b32_e32 v12, v10, v6
	v_lshlrev_b32_e32 v10, v10, v12
	v_cmp_ne_u32_e32 vcc, v10, v6
	ds_read2_b32 v[14:15], v70 offset0:48 offset1:248
	v_cndmask_b32_e64 v6, 0, 1, vcc
	v_add_u32_e32 v8, 0xfffffc10, v8
	v_or_b32_e32 v6, v12, v6
	v_lshl_or_b32 v10, v8, 12, v4
	v_cmp_gt_i32_e32 vcc, 1, v8
	v_cndmask_b32_e32 v6, v10, v6, vcc
	v_and_b32_e32 v10, 7, v6
	v_cmp_lt_i32_e32 vcc, 5, v10
	v_cmp_eq_u32_e64 s[0:1], 3, v10
	s_waitcnt lgkmcnt(0)
	v_lshrrev_b32_e32 v10, 16, v14
	v_mul_f16_sdwa v12, v64, v10 dst_sel:DWORD dst_unused:UNUSED_PAD src0_sel:WORD_1 src1_sel:DWORD
	v_fma_f16 v12, v64, v14, v12
	v_cvt_f32_f16_e32 v12, v12
	v_lshrrev_b32_e32 v6, 2, v6
	s_or_b64 vcc, s[0:1], vcc
	v_addc_co_u32_e32 v6, vcc, 0, v6, vcc
	v_cmp_gt_i32_e32 vcc, 31, v8
	v_cvt_f64_f32_e32 v[20:21], v12
	v_cndmask_b32_e32 v6, v0, v6, vcc
	v_cmp_ne_u32_e32 vcc, 0, v4
	v_cndmask_b32_e64 v4, 0, 1, vcc
	v_lshl_or_b32 v4, v4, 9, v0
	v_cmp_eq_u32_e32 vcc, s10, v8
	v_cndmask_b32_e32 v4, v6, v4, vcc
	v_lshrrev_b32_e32 v6, 16, v19
	v_mul_f64 v[18:19], v[20:21], s[2:3]
	v_and_or_b32 v4, v6, s11, v4
	v_and_b32_e32 v2, 0xffff, v2
	v_lshl_or_b32 v2, v4, 16, v2
	v_mov_b32_e32 v4, s4
	v_add_co_u32_e32 v20, vcc, s5, v16
	v_addc_co_u32_e32 v21, vcc, v17, v4, vcc
	global_store_dword v[20:21], v2, off
	v_and_or_b32 v2, v19, s6, v18
	v_cmp_ne_u32_e32 vcc, 0, v2
	v_cndmask_b32_e64 v2, 0, 1, vcc
	v_lshrrev_b32_e32 v4, 8, v19
	v_bfe_u32 v6, v19, 20, 11
	v_and_or_b32 v2, v4, s7, v2
	v_sub_u32_e32 v8, 0x3f1, v6
	v_or_b32_e32 v4, 0x1000, v2
	v_med3_i32 v8, v8, 0, 13
	v_lshrrev_b32_e32 v12, v8, v4
	v_lshlrev_b32_e32 v8, v8, v12
	v_cmp_ne_u32_e32 vcc, v8, v4
	v_cndmask_b32_e64 v4, 0, 1, vcc
	v_or_b32_e32 v4, v12, v4
	v_mul_f16_sdwa v12, v64, v14 dst_sel:DWORD dst_unused:UNUSED_PAD src0_sel:WORD_1 src1_sel:DWORD
	v_fma_f16 v10, v64, v10, -v12
	v_cvt_f32_f16_e32 v10, v10
	v_add_u32_e32 v6, 0xfffffc10, v6
	v_lshl_or_b32 v8, v6, 12, v2
	v_cmp_gt_i32_e32 vcc, 1, v6
	v_cvt_f64_f32_e32 v[16:17], v10
	v_cndmask_b32_e32 v4, v8, v4, vcc
	v_and_b32_e32 v8, 7, v4
	v_cmp_lt_i32_e32 vcc, 5, v8
	v_cmp_eq_u32_e64 s[0:1], 3, v8
	v_mul_f64 v[17:18], v[16:17], s[2:3]
	v_lshrrev_b32_e32 v4, 2, v4
	s_or_b64 vcc, s[0:1], vcc
	v_addc_co_u32_e32 v4, vcc, 0, v4, vcc
	v_cmp_gt_i32_e32 vcc, 31, v6
	v_cndmask_b32_e32 v4, v0, v4, vcc
	v_cmp_ne_u32_e32 vcc, 0, v2
	v_cndmask_b32_e64 v2, 0, 1, vcc
	v_lshl_or_b32 v2, v2, 9, v0
	v_cmp_eq_u32_e32 vcc, s10, v6
	v_cndmask_b32_e32 v2, v4, v2, vcc
	v_lshrrev_b32_e32 v4, 16, v19
	v_and_or_b32 v2, v4, s11, v2
	v_and_or_b32 v4, v18, s6, v17
	v_cmp_ne_u32_e32 vcc, 0, v4
	v_cndmask_b32_e64 v4, 0, 1, vcc
	v_lshrrev_b32_e32 v6, 8, v18
	v_bfe_u32 v8, v18, 20, 11
	v_and_or_b32 v4, v6, s7, v4
	v_sub_u32_e32 v10, 0x3f1, v8
	v_or_b32_e32 v6, 0x1000, v4
	v_med3_i32 v10, v10, 0, 13
	v_lshrrev_b32_e32 v12, v10, v6
	v_lshlrev_b32_e32 v10, v10, v12
	v_cmp_ne_u32_e32 vcc, v10, v6
	ds_read2_b32 v[16:17], v68 offset1:200
	v_cndmask_b32_e64 v6, 0, 1, vcc
	v_add_u32_e32 v8, 0xfffffc10, v8
	v_or_b32_e32 v6, v12, v6
	v_lshl_or_b32 v10, v8, 12, v4
	v_cmp_gt_i32_e32 vcc, 1, v8
	v_cndmask_b32_e32 v6, v10, v6, vcc
	v_and_b32_e32 v10, 7, v6
	v_cmp_lt_i32_e32 vcc, 5, v10
	v_cmp_eq_u32_e64 s[0:1], 3, v10
	s_waitcnt lgkmcnt(0)
	v_lshrrev_b32_e32 v10, 16, v16
	v_mul_f16_sdwa v12, v63, v10 dst_sel:DWORD dst_unused:UNUSED_PAD src0_sel:WORD_1 src1_sel:DWORD
	v_fma_f16 v12, v63, v16, v12
	v_cvt_f32_f16_e32 v12, v12
	v_lshrrev_b32_e32 v6, 2, v6
	s_or_b64 vcc, s[0:1], vcc
	v_addc_co_u32_e32 v6, vcc, 0, v6, vcc
	v_cmp_gt_i32_e32 vcc, 31, v8
	v_cvt_f64_f32_e32 v[22:23], v12
	v_cndmask_b32_e32 v6, v0, v6, vcc
	v_cmp_ne_u32_e32 vcc, 0, v4
	v_cndmask_b32_e64 v4, 0, 1, vcc
	v_lshl_or_b32 v4, v4, 9, v0
	v_cmp_eq_u32_e32 vcc, s10, v8
	v_cndmask_b32_e32 v4, v6, v4, vcc
	v_lshrrev_b32_e32 v6, 16, v18
	v_mul_f64 v[18:19], v[22:23], s[2:3]
	v_and_or_b32 v4, v6, s11, v4
	v_and_b32_e32 v2, 0xffff, v2
	v_lshl_or_b32 v2, v4, 16, v2
	v_mov_b32_e32 v4, s4
	v_add_co_u32_e32 v20, vcc, s5, v20
	v_addc_co_u32_e32 v21, vcc, v21, v4, vcc
	global_store_dword v[20:21], v2, off
	v_and_or_b32 v2, v19, s6, v18
	v_cmp_ne_u32_e32 vcc, 0, v2
	v_cndmask_b32_e64 v2, 0, 1, vcc
	v_lshrrev_b32_e32 v4, 8, v19
	v_bfe_u32 v6, v19, 20, 11
	v_and_or_b32 v2, v4, s7, v2
	v_sub_u32_e32 v8, 0x3f1, v6
	v_or_b32_e32 v4, 0x1000, v2
	v_med3_i32 v8, v8, 0, 13
	v_lshrrev_b32_e32 v12, v8, v4
	v_lshlrev_b32_e32 v8, v8, v12
	v_cmp_ne_u32_e32 vcc, v8, v4
	v_cndmask_b32_e64 v4, 0, 1, vcc
	v_or_b32_e32 v4, v12, v4
	v_mul_f16_sdwa v12, v63, v16 dst_sel:DWORD dst_unused:UNUSED_PAD src0_sel:WORD_1 src1_sel:DWORD
	v_fma_f16 v10, v63, v10, -v12
	v_cvt_f32_f16_e32 v10, v10
	v_add_u32_e32 v6, 0xfffffc10, v6
	v_lshl_or_b32 v8, v6, 12, v2
	v_cmp_gt_i32_e32 vcc, 1, v6
	v_cvt_f64_f32_e32 v[22:23], v10
	v_cndmask_b32_e32 v4, v8, v4, vcc
	v_and_b32_e32 v8, 7, v4
	v_cmp_lt_i32_e32 vcc, 5, v8
	v_cmp_eq_u32_e64 s[0:1], 3, v8
	v_mul_f64 v[22:23], v[22:23], s[2:3]
	v_lshrrev_b32_e32 v4, 2, v4
	s_or_b64 vcc, s[0:1], vcc
	v_addc_co_u32_e32 v4, vcc, 0, v4, vcc
	v_cmp_gt_i32_e32 vcc, 31, v6
	v_cndmask_b32_e32 v4, v0, v4, vcc
	v_cmp_ne_u32_e32 vcc, 0, v2
	v_cndmask_b32_e64 v2, 0, 1, vcc
	v_lshl_or_b32 v2, v2, 9, v0
	v_cmp_eq_u32_e32 vcc, s10, v6
	v_cndmask_b32_e32 v2, v4, v2, vcc
	v_lshrrev_b32_e32 v4, 16, v19
	v_and_or_b32 v2, v4, s11, v2
	v_and_or_b32 v4, v23, s6, v22
	v_cmp_ne_u32_e32 vcc, 0, v4
	v_cndmask_b32_e64 v4, 0, 1, vcc
	v_lshrrev_b32_e32 v6, 8, v23
	v_bfe_u32 v8, v23, 20, 11
	v_and_or_b32 v4, v6, s7, v4
	v_sub_u32_e32 v10, 0x3f1, v8
	v_or_b32_e32 v6, 0x1000, v4
	v_med3_i32 v10, v10, 0, 13
	v_lshrrev_b32_e32 v12, v10, v6
	v_lshlrev_b32_e32 v10, v10, v12
	v_cmp_ne_u32_e32 vcc, v10, v6
	ds_read2_b32 v[18:19], v66 offset0:16 offset1:216
	v_cndmask_b32_e64 v6, 0, 1, vcc
	v_add_u32_e32 v8, 0xfffffc10, v8
	v_or_b32_e32 v6, v12, v6
	v_lshl_or_b32 v10, v8, 12, v4
	v_cmp_gt_i32_e32 vcc, 1, v8
	v_cndmask_b32_e32 v6, v10, v6, vcc
	v_and_b32_e32 v10, 7, v6
	v_cmp_lt_i32_e32 vcc, 5, v10
	v_cmp_eq_u32_e64 s[0:1], 3, v10
	s_waitcnt lgkmcnt(0)
	v_lshrrev_b32_e32 v10, 16, v18
	v_mul_f16_sdwa v12, v61, v10 dst_sel:DWORD dst_unused:UNUSED_PAD src0_sel:WORD_1 src1_sel:DWORD
	v_fma_f16 v12, v61, v18, v12
	v_cvt_f32_f16_e32 v12, v12
	v_lshrrev_b32_e32 v6, 2, v6
	s_or_b64 vcc, s[0:1], vcc
	v_addc_co_u32_e32 v6, vcc, 0, v6, vcc
	v_cmp_gt_i32_e32 vcc, 31, v8
	v_cvt_f64_f32_e32 v[24:25], v12
	v_cndmask_b32_e32 v6, v0, v6, vcc
	v_cmp_ne_u32_e32 vcc, 0, v4
	v_cndmask_b32_e64 v4, 0, 1, vcc
	v_lshl_or_b32 v4, v4, 9, v0
	v_cmp_eq_u32_e32 vcc, s10, v8
	v_cndmask_b32_e32 v4, v6, v4, vcc
	v_lshrrev_b32_e32 v6, 16, v23
	v_mul_f64 v[22:23], v[24:25], s[2:3]
	v_and_or_b32 v4, v6, s11, v4
	v_and_b32_e32 v2, 0xffff, v2
	v_lshl_or_b32 v2, v4, 16, v2
	v_mov_b32_e32 v4, s4
	v_add_co_u32_e32 v20, vcc, s5, v20
	v_addc_co_u32_e32 v21, vcc, v21, v4, vcc
	global_store_dword v[20:21], v2, off
	v_and_or_b32 v2, v23, s6, v22
	v_cmp_ne_u32_e32 vcc, 0, v2
	v_cndmask_b32_e64 v2, 0, 1, vcc
	v_lshrrev_b32_e32 v4, 8, v23
	v_bfe_u32 v6, v23, 20, 11
	v_and_or_b32 v2, v4, s7, v2
	v_sub_u32_e32 v8, 0x3f1, v6
	v_or_b32_e32 v4, 0x1000, v2
	v_med3_i32 v8, v8, 0, 13
	v_lshrrev_b32_e32 v12, v8, v4
	v_lshlrev_b32_e32 v8, v8, v12
	v_cmp_ne_u32_e32 vcc, v8, v4
	v_cndmask_b32_e64 v4, 0, 1, vcc
	v_or_b32_e32 v4, v12, v4
	v_mul_f16_sdwa v12, v61, v18 dst_sel:DWORD dst_unused:UNUSED_PAD src0_sel:WORD_1 src1_sel:DWORD
	v_fma_f16 v10, v61, v10, -v12
	v_cvt_f32_f16_e32 v10, v10
	v_add_u32_e32 v6, 0xfffffc10, v6
	v_lshl_or_b32 v8, v6, 12, v2
	v_cmp_gt_i32_e32 vcc, 1, v6
	v_cvt_f64_f32_e32 v[24:25], v10
	v_cndmask_b32_e32 v4, v8, v4, vcc
	v_and_b32_e32 v8, 7, v4
	v_cmp_lt_i32_e32 vcc, 5, v8
	v_cmp_eq_u32_e64 s[0:1], 3, v8
	v_mul_f64 v[24:25], v[24:25], s[2:3]
	v_lshrrev_b32_e32 v4, 2, v4
	s_or_b64 vcc, s[0:1], vcc
	v_addc_co_u32_e32 v4, vcc, 0, v4, vcc
	v_cmp_gt_i32_e32 vcc, 31, v6
	v_cndmask_b32_e32 v4, v0, v4, vcc
	v_cmp_ne_u32_e32 vcc, 0, v2
	v_cndmask_b32_e64 v2, 0, 1, vcc
	v_lshl_or_b32 v2, v2, 9, v0
	v_cmp_eq_u32_e32 vcc, s10, v6
	v_cndmask_b32_e32 v2, v4, v2, vcc
	v_lshrrev_b32_e32 v4, 16, v23
	v_and_or_b32 v2, v4, s11, v2
	v_and_or_b32 v4, v25, s6, v24
	v_cmp_ne_u32_e32 vcc, 0, v4
	v_cndmask_b32_e64 v4, 0, 1, vcc
	v_lshrrev_b32_e32 v6, 8, v25
	v_bfe_u32 v8, v25, 20, 11
	v_and_or_b32 v4, v6, s7, v4
	v_sub_u32_e32 v10, 0x3f1, v8
	v_or_b32_e32 v6, 0x1000, v4
	v_med3_i32 v10, v10, 0, 13
	v_lshrrev_b32_e32 v12, v10, v6
	v_lshlrev_b32_e32 v10, v10, v12
	v_cmp_ne_u32_e32 vcc, v10, v6
	v_cndmask_b32_e64 v6, 0, 1, vcc
	v_add_u32_e32 v8, 0xfffffc10, v8
	v_or_b32_e32 v6, v12, v6
	v_lshl_or_b32 v10, v8, 12, v4
	v_cmp_gt_i32_e32 vcc, 1, v8
	v_cndmask_b32_e32 v6, v10, v6, vcc
	v_and_b32_e32 v10, 7, v6
	v_cmp_lt_i32_e32 vcc, 5, v10
	v_cmp_eq_u32_e64 s[0:1], 3, v10
	v_lshrrev_b32_e32 v10, 16, v1
	v_mul_f16_sdwa v12, v59, v10 dst_sel:DWORD dst_unused:UNUSED_PAD src0_sel:WORD_1 src1_sel:DWORD
	v_fma_f16 v12, v59, v1, v12
	v_cvt_f32_f16_e32 v12, v12
	v_lshrrev_b32_e32 v6, 2, v6
	s_or_b64 vcc, s[0:1], vcc
	v_addc_co_u32_e32 v6, vcc, 0, v6, vcc
	v_cvt_f64_f32_e32 v[22:23], v12
	v_cmp_gt_i32_e32 vcc, 31, v8
	v_cndmask_b32_e32 v6, v0, v6, vcc
	v_cmp_ne_u32_e32 vcc, 0, v4
	v_mul_f64 v[22:23], v[22:23], s[2:3]
	v_cndmask_b32_e64 v4, 0, 1, vcc
	v_lshl_or_b32 v4, v4, 9, v0
	v_cmp_eq_u32_e32 vcc, s10, v8
	v_cndmask_b32_e32 v4, v6, v4, vcc
	v_lshrrev_b32_e32 v6, 16, v25
	v_and_or_b32 v4, v6, s11, v4
	v_and_b32_e32 v2, 0xffff, v2
	v_lshl_or_b32 v2, v4, 16, v2
	v_mov_b32_e32 v4, s4
	v_add_co_u32_e32 v20, vcc, s5, v20
	v_addc_co_u32_e32 v21, vcc, v21, v4, vcc
	global_store_dword v[20:21], v2, off
	v_and_or_b32 v2, v23, s6, v22
	v_cmp_ne_u32_e32 vcc, 0, v2
	v_cndmask_b32_e64 v2, 0, 1, vcc
	v_lshrrev_b32_e32 v4, 8, v23
	v_bfe_u32 v6, v23, 20, 11
	v_and_or_b32 v4, v4, s7, v2
	v_sub_u32_e32 v8, 0x3f1, v6
	v_or_b32_e32 v2, 0x1000, v4
	v_med3_i32 v8, v8, 0, 13
	v_lshrrev_b32_e32 v12, v8, v2
	v_lshlrev_b32_e32 v8, v8, v12
	v_mul_f16_sdwa v1, v59, v1 dst_sel:DWORD dst_unused:UNUSED_PAD src0_sel:WORD_1 src1_sel:DWORD
	v_cmp_ne_u32_e32 vcc, v8, v2
	v_fma_f16 v1, v59, v10, -v1
	v_cndmask_b32_e64 v2, 0, 1, vcc
	v_add_u32_e32 v6, 0xfffffc10, v6
	v_cvt_f32_f16_e32 v1, v1
	v_or_b32_e32 v2, v12, v2
	v_lshl_or_b32 v8, v6, 12, v4
	v_cmp_gt_i32_e32 vcc, 1, v6
	v_cndmask_b32_e32 v2, v8, v2, vcc
	v_and_b32_e32 v8, 7, v2
	v_cmp_lt_i32_e32 vcc, 5, v8
	v_cmp_eq_u32_e64 s[0:1], 3, v8
	v_lshrrev_b32_e32 v8, 2, v2
	v_cvt_f64_f32_e32 v[1:2], v1
	s_or_b64 vcc, s[0:1], vcc
	v_addc_co_u32_e32 v8, vcc, 0, v8, vcc
	v_mul_f64 v[1:2], v[1:2], s[2:3]
	v_cmp_gt_i32_e32 vcc, 31, v6
	v_cndmask_b32_e32 v8, v0, v8, vcc
	v_cmp_ne_u32_e32 vcc, 0, v4
	v_cndmask_b32_e64 v4, 0, 1, vcc
	v_lshl_or_b32 v4, v4, 9, v0
	v_cmp_eq_u32_e32 vcc, s10, v6
	v_cndmask_b32_e32 v4, v8, v4, vcc
	v_and_or_b32 v1, v2, s6, v1
	v_lshrrev_b32_e32 v6, 16, v23
	v_cmp_ne_u32_e32 vcc, 0, v1
	v_and_or_b32 v4, v6, s11, v4
	v_cndmask_b32_e64 v1, 0, 1, vcc
	v_lshrrev_b32_e32 v6, 8, v2
	v_bfe_u32 v8, v2, 20, 11
	v_and_or_b32 v1, v6, s7, v1
	v_sub_u32_e32 v10, 0x3f1, v8
	v_or_b32_e32 v6, 0x1000, v1
	v_med3_i32 v10, v10, 0, 13
	v_lshrrev_b32_e32 v12, v10, v6
	v_lshlrev_b32_e32 v10, v10, v12
	v_cmp_ne_u32_e32 vcc, v10, v6
	v_cndmask_b32_e64 v6, 0, 1, vcc
	v_add_u32_e32 v8, 0xfffffc10, v8
	v_or_b32_e32 v6, v12, v6
	v_lshl_or_b32 v10, v8, 12, v1
	v_cmp_gt_i32_e32 vcc, 1, v8
	v_cndmask_b32_e32 v6, v10, v6, vcc
	v_and_b32_e32 v10, 7, v6
	v_cmp_lt_i32_e32 vcc, 5, v10
	v_cmp_eq_u32_e64 s[0:1], 3, v10
	v_lshrrev_b32_e32 v10, 16, v3
	v_mul_f16_sdwa v12, v58, v10 dst_sel:DWORD dst_unused:UNUSED_PAD src0_sel:WORD_1 src1_sel:DWORD
	v_fma_f16 v12, v58, v3, v12
	v_cvt_f32_f16_e32 v12, v12
	v_lshrrev_b32_e32 v6, 2, v6
	s_or_b64 vcc, s[0:1], vcc
	v_addc_co_u32_e32 v6, vcc, 0, v6, vcc
	v_cmp_gt_i32_e32 vcc, 31, v8
	v_cndmask_b32_e32 v6, v0, v6, vcc
	v_cmp_ne_u32_e32 vcc, 0, v1
	v_cvt_f64_f32_e32 v[22:23], v12
	v_cndmask_b32_e64 v1, 0, 1, vcc
	v_lshl_or_b32 v1, v1, 9, v0
	v_cmp_eq_u32_e32 vcc, s10, v8
	v_cndmask_b32_e32 v1, v6, v1, vcc
	v_lshrrev_b32_e32 v2, 16, v2
	v_and_or_b32 v6, v2, s11, v1
	v_mul_f64 v[1:2], v[22:23], s[2:3]
	v_mad_u64_u32 v[20:21], s[0:1], s8, v60, v[20:21]
	s_mul_i32 s0, s9, 0xffffcae0
	v_and_b32_e32 v4, 0xffff, v4
	s_sub_i32 s0, s0, s8
	v_lshl_or_b32 v4, v6, 16, v4
	v_add_u32_e32 v21, s0, v21
	v_and_or_b32 v1, v2, s6, v1
	v_cmp_ne_u32_e32 vcc, 0, v1
	global_store_dword v[20:21], v4, off
	v_cndmask_b32_e64 v1, 0, 1, vcc
	v_lshrrev_b32_e32 v4, 8, v2
	v_bfe_u32 v6, v2, 20, 11
	v_and_or_b32 v1, v4, s7, v1
	v_sub_u32_e32 v8, 0x3f1, v6
	v_or_b32_e32 v4, 0x1000, v1
	v_med3_i32 v8, v8, 0, 13
	v_lshrrev_b32_e32 v12, v8, v4
	v_lshlrev_b32_e32 v8, v8, v12
	v_mul_f16_sdwa v3, v58, v3 dst_sel:DWORD dst_unused:UNUSED_PAD src0_sel:WORD_1 src1_sel:DWORD
	v_cmp_ne_u32_e32 vcc, v8, v4
	v_fma_f16 v3, v58, v10, -v3
	v_cndmask_b32_e64 v4, 0, 1, vcc
	v_add_u32_e32 v6, 0xfffffc10, v6
	v_cvt_f32_f16_e32 v3, v3
	v_or_b32_e32 v4, v12, v4
	v_lshl_or_b32 v8, v6, 12, v1
	v_cmp_gt_i32_e32 vcc, 1, v6
	v_cndmask_b32_e32 v4, v8, v4, vcc
	v_and_b32_e32 v8, 7, v4
	v_cmp_lt_i32_e32 vcc, 5, v8
	v_cmp_eq_u32_e64 s[0:1], 3, v8
	v_lshrrev_b32_e32 v8, 2, v4
	v_cvt_f64_f32_e32 v[3:4], v3
	s_or_b64 vcc, s[0:1], vcc
	v_addc_co_u32_e32 v8, vcc, 0, v8, vcc
	v_mul_f64 v[3:4], v[3:4], s[2:3]
	v_cmp_gt_i32_e32 vcc, 31, v6
	v_cndmask_b32_e32 v8, v0, v8, vcc
	v_cmp_ne_u32_e32 vcc, 0, v1
	v_cndmask_b32_e64 v1, 0, 1, vcc
	v_lshl_or_b32 v1, v1, 9, v0
	v_cmp_eq_u32_e32 vcc, s10, v6
	v_cndmask_b32_e32 v1, v8, v1, vcc
	v_lshrrev_b32_e32 v2, 16, v2
	v_and_or_b32 v6, v2, s11, v1
	v_and_or_b32 v1, v4, s6, v3
	v_cmp_ne_u32_e32 vcc, 0, v1
	v_cndmask_b32_e64 v1, 0, 1, vcc
	v_lshrrev_b32_e32 v2, 8, v4
	v_bfe_u32 v3, v4, 20, 11
	v_and_or_b32 v1, v2, s7, v1
	v_sub_u32_e32 v8, 0x3f1, v3
	v_or_b32_e32 v2, 0x1000, v1
	v_med3_i32 v8, v8, 0, 13
	v_lshrrev_b32_e32 v10, v8, v2
	v_lshlrev_b32_e32 v8, v8, v10
	v_cmp_ne_u32_e32 vcc, v8, v2
	v_cndmask_b32_e64 v2, 0, 1, vcc
	v_add_u32_e32 v3, 0xfffffc10, v3
	v_or_b32_e32 v2, v10, v2
	v_lshl_or_b32 v8, v3, 12, v1
	v_cmp_gt_i32_e32 vcc, 1, v3
	v_cndmask_b32_e32 v2, v8, v2, vcc
	v_and_b32_e32 v8, 7, v2
	v_cmp_lt_i32_e32 vcc, 5, v8
	v_cmp_eq_u32_e64 s[0:1], 3, v8
	v_lshrrev_b32_e32 v8, 16, v5
	v_lshrrev_b32_e32 v2, 2, v2
	s_or_b64 vcc, s[0:1], vcc
	v_mul_f16_sdwa v10, v57, v8 dst_sel:DWORD dst_unused:UNUSED_PAD src0_sel:WORD_1 src1_sel:DWORD
	v_addc_co_u32_e32 v2, vcc, 0, v2, vcc
	v_fma_f16 v10, v57, v5, v10
	v_cmp_gt_i32_e32 vcc, 31, v3
	v_cvt_f32_f16_e32 v10, v10
	v_cndmask_b32_e32 v2, v0, v2, vcc
	v_cmp_ne_u32_e32 vcc, 0, v1
	v_cndmask_b32_e64 v1, 0, 1, vcc
	v_lshl_or_b32 v1, v1, 9, v0
	v_cmp_eq_u32_e32 vcc, s10, v3
	v_cndmask_b32_e32 v3, v2, v1, vcc
	v_cvt_f64_f32_e32 v[1:2], v10
	v_lshrrev_b32_e32 v4, 16, v4
	v_and_or_b32 v3, v4, s11, v3
	v_and_b32_e32 v4, 0xffff, v6
	v_mul_f64 v[1:2], v[1:2], s[2:3]
	v_lshl_or_b32 v6, v3, 16, v4
	v_mov_b32_e32 v4, s4
	v_add_co_u32_e32 v3, vcc, s5, v20
	v_addc_co_u32_e32 v4, vcc, v21, v4, vcc
	global_store_dword v[3:4], v6, off
	v_and_or_b32 v1, v2, s6, v1
	v_cmp_ne_u32_e32 vcc, 0, v1
	v_cndmask_b32_e64 v1, 0, 1, vcc
	v_lshrrev_b32_e32 v6, 8, v2
	v_bfe_u32 v10, v2, 20, 11
	v_and_or_b32 v1, v6, s7, v1
	v_sub_u32_e32 v12, 0x3f1, v10
	v_or_b32_e32 v6, 0x1000, v1
	v_med3_i32 v12, v12, 0, 13
	v_lshrrev_b32_e32 v14, v12, v6
	v_mul_f16_sdwa v5, v57, v5 dst_sel:DWORD dst_unused:UNUSED_PAD src0_sel:WORD_1 src1_sel:DWORD
	v_lshlrev_b32_e32 v12, v12, v14
	v_fma_f16 v5, v57, v8, -v5
	v_cmp_ne_u32_e32 vcc, v12, v6
	v_cvt_f32_f16_e32 v5, v5
	v_cndmask_b32_e64 v6, 0, 1, vcc
	v_add_u32_e32 v10, 0xfffffc10, v10
	v_or_b32_e32 v6, v14, v6
	v_lshl_or_b32 v12, v10, 12, v1
	v_cmp_gt_i32_e32 vcc, 1, v10
	v_cndmask_b32_e32 v6, v12, v6, vcc
	v_and_b32_e32 v12, 7, v6
	v_lshrrev_b32_e32 v8, 2, v6
	v_cvt_f64_f32_e32 v[5:6], v5
	v_cmp_lt_i32_e32 vcc, 5, v12
	v_cmp_eq_u32_e64 s[0:1], 3, v12
	s_or_b64 vcc, s[0:1], vcc
	v_mul_f64 v[5:6], v[5:6], s[2:3]
	v_addc_co_u32_e32 v8, vcc, 0, v8, vcc
	v_cmp_gt_i32_e32 vcc, 31, v10
	v_cndmask_b32_e32 v8, v0, v8, vcc
	v_cmp_ne_u32_e32 vcc, 0, v1
	v_cndmask_b32_e64 v1, 0, 1, vcc
	v_lshl_or_b32 v1, v1, 9, v0
	v_cmp_eq_u32_e32 vcc, s10, v10
	v_cndmask_b32_e32 v1, v8, v1, vcc
	v_lshrrev_b32_e32 v2, 16, v2
	v_and_or_b32 v8, v2, s11, v1
	v_and_or_b32 v1, v6, s6, v5
	v_cmp_ne_u32_e32 vcc, 0, v1
	v_cndmask_b32_e64 v1, 0, 1, vcc
	v_lshrrev_b32_e32 v2, 8, v6
	v_bfe_u32 v5, v6, 20, 11
	v_and_or_b32 v1, v2, s7, v1
	v_sub_u32_e32 v10, 0x3f1, v5
	v_or_b32_e32 v2, 0x1000, v1
	v_med3_i32 v10, v10, 0, 13
	v_lshrrev_b32_e32 v12, v10, v2
	v_lshlrev_b32_e32 v10, v10, v12
	v_cmp_ne_u32_e32 vcc, v10, v2
	v_cndmask_b32_e64 v2, 0, 1, vcc
	v_add_u32_e32 v5, 0xfffffc10, v5
	v_or_b32_e32 v2, v12, v2
	v_lshl_or_b32 v10, v5, 12, v1
	v_cmp_gt_i32_e32 vcc, 1, v5
	v_cndmask_b32_e32 v2, v10, v2, vcc
	v_and_b32_e32 v10, 7, v2
	v_cmp_lt_i32_e32 vcc, 5, v10
	v_cmp_eq_u32_e64 s[0:1], 3, v10
	v_lshrrev_b32_e32 v10, 16, v7
	v_lshrrev_b32_e32 v2, 2, v2
	s_or_b64 vcc, s[0:1], vcc
	v_mul_f16_sdwa v12, v56, v10 dst_sel:DWORD dst_unused:UNUSED_PAD src0_sel:WORD_1 src1_sel:DWORD
	v_addc_co_u32_e32 v2, vcc, 0, v2, vcc
	v_fma_f16 v12, v56, v7, v12
	v_cmp_gt_i32_e32 vcc, 31, v5
	v_cvt_f32_f16_e32 v12, v12
	v_cndmask_b32_e32 v2, v0, v2, vcc
	v_cmp_ne_u32_e32 vcc, 0, v1
	v_cndmask_b32_e64 v1, 0, 1, vcc
	v_lshl_or_b32 v1, v1, 9, v0
	v_cmp_eq_u32_e32 vcc, s10, v5
	v_cndmask_b32_e32 v5, v2, v1, vcc
	v_cvt_f64_f32_e32 v[1:2], v12
	v_lshrrev_b32_e32 v6, 16, v6
	v_and_or_b32 v5, v6, s11, v5
	v_and_b32_e32 v6, 0xffff, v8
	v_mul_f64 v[1:2], v[1:2], s[2:3]
	v_lshl_or_b32 v5, v5, 16, v6
	v_mov_b32_e32 v6, s4
	v_add_co_u32_e32 v3, vcc, s5, v3
	v_addc_co_u32_e32 v4, vcc, v4, v6, vcc
	global_store_dword v[3:4], v5, off
	v_and_or_b32 v1, v2, s6, v1
	v_cmp_ne_u32_e32 vcc, 0, v1
	v_cndmask_b32_e64 v1, 0, 1, vcc
	v_lshrrev_b32_e32 v5, 8, v2
	v_bfe_u32 v6, v2, 20, 11
	v_and_or_b32 v1, v5, s7, v1
	v_sub_u32_e32 v8, 0x3f1, v6
	v_or_b32_e32 v5, 0x1000, v1
	v_med3_i32 v8, v8, 0, 13
	v_lshrrev_b32_e32 v12, v8, v5
	v_lshlrev_b32_e32 v8, v8, v12
	v_mul_f16_sdwa v7, v56, v7 dst_sel:DWORD dst_unused:UNUSED_PAD src0_sel:WORD_1 src1_sel:DWORD
	v_cmp_ne_u32_e32 vcc, v8, v5
	v_fma_f16 v7, v56, v10, -v7
	v_cndmask_b32_e64 v5, 0, 1, vcc
	v_add_u32_e32 v8, 0xfffffc10, v6
	v_cvt_f32_f16_e32 v7, v7
	v_or_b32_e32 v5, v12, v5
	v_lshl_or_b32 v6, v8, 12, v1
	v_cmp_gt_i32_e32 vcc, 1, v8
	v_cndmask_b32_e32 v5, v6, v5, vcc
	v_and_b32_e32 v6, 7, v5
	v_cmp_lt_i32_e32 vcc, 5, v6
	v_cmp_eq_u32_e64 s[0:1], 3, v6
	v_lshrrev_b32_e32 v10, 2, v5
	v_cvt_f64_f32_e32 v[5:6], v7
	s_or_b64 vcc, s[0:1], vcc
	v_addc_co_u32_e32 v7, vcc, 0, v10, vcc
	v_mul_f64 v[5:6], v[5:6], s[2:3]
	v_cmp_gt_i32_e32 vcc, 31, v8
	v_cndmask_b32_e32 v7, v0, v7, vcc
	v_cmp_ne_u32_e32 vcc, 0, v1
	v_cndmask_b32_e64 v1, 0, 1, vcc
	v_lshl_or_b32 v1, v1, 9, v0
	v_cmp_eq_u32_e32 vcc, s10, v8
	v_cndmask_b32_e32 v1, v7, v1, vcc
	v_lshrrev_b32_e32 v2, 16, v2
	v_and_or_b32 v7, v2, s11, v1
	v_and_or_b32 v1, v6, s6, v5
	v_cmp_ne_u32_e32 vcc, 0, v1
	v_cndmask_b32_e64 v1, 0, 1, vcc
	v_lshrrev_b32_e32 v2, 8, v6
	v_bfe_u32 v5, v6, 20, 11
	v_and_or_b32 v1, v2, s7, v1
	v_sub_u32_e32 v8, 0x3f1, v5
	v_or_b32_e32 v2, 0x1000, v1
	v_med3_i32 v8, v8, 0, 13
	v_lshrrev_b32_e32 v10, v8, v2
	v_lshlrev_b32_e32 v8, v8, v10
	v_cmp_ne_u32_e32 vcc, v8, v2
	v_cndmask_b32_e64 v2, 0, 1, vcc
	v_add_u32_e32 v5, 0xfffffc10, v5
	v_or_b32_e32 v2, v10, v2
	v_lshl_or_b32 v8, v5, 12, v1
	v_cmp_gt_i32_e32 vcc, 1, v5
	v_cndmask_b32_e32 v2, v8, v2, vcc
	v_and_b32_e32 v8, 7, v2
	v_cmp_lt_i32_e32 vcc, 5, v8
	v_cmp_eq_u32_e64 s[0:1], 3, v8
	v_lshrrev_b32_e32 v8, 16, v9
	v_lshrrev_b32_e32 v2, 2, v2
	s_or_b64 vcc, s[0:1], vcc
	v_mul_f16_sdwa v10, v55, v8 dst_sel:DWORD dst_unused:UNUSED_PAD src0_sel:WORD_1 src1_sel:DWORD
	v_addc_co_u32_e32 v2, vcc, 0, v2, vcc
	v_fma_f16 v10, v55, v9, v10
	v_cmp_gt_i32_e32 vcc, 31, v5
	v_cvt_f32_f16_e32 v10, v10
	v_cndmask_b32_e32 v2, v0, v2, vcc
	v_cmp_ne_u32_e32 vcc, 0, v1
	v_cndmask_b32_e64 v1, 0, 1, vcc
	v_lshl_or_b32 v1, v1, 9, v0
	v_cmp_eq_u32_e32 vcc, s10, v5
	v_cndmask_b32_e32 v5, v2, v1, vcc
	v_cvt_f64_f32_e32 v[1:2], v10
	v_lshrrev_b32_e32 v6, 16, v6
	v_and_or_b32 v5, v6, s11, v5
	v_and_b32_e32 v6, 0xffff, v7
	v_mul_f64 v[1:2], v[1:2], s[2:3]
	v_lshl_or_b32 v5, v5, 16, v6
	v_mov_b32_e32 v6, s4
	v_add_co_u32_e32 v3, vcc, s5, v3
	v_addc_co_u32_e32 v4, vcc, v4, v6, vcc
	global_store_dword v[3:4], v5, off
	v_and_or_b32 v1, v2, s6, v1
	v_cmp_ne_u32_e32 vcc, 0, v1
	v_cndmask_b32_e64 v1, 0, 1, vcc
	v_lshrrev_b32_e32 v5, 8, v2
	v_bfe_u32 v6, v2, 20, 11
	v_and_or_b32 v1, v5, s7, v1
	v_sub_u32_e32 v7, 0x3f1, v6
	v_or_b32_e32 v5, 0x1000, v1
	v_med3_i32 v7, v7, 0, 13
	v_lshrrev_b32_e32 v10, v7, v5
	v_lshlrev_b32_e32 v7, v7, v10
	v_mul_f16_sdwa v9, v55, v9 dst_sel:DWORD dst_unused:UNUSED_PAD src0_sel:WORD_1 src1_sel:DWORD
	v_cmp_ne_u32_e32 vcc, v7, v5
	v_fma_f16 v8, v55, v8, -v9
	v_cndmask_b32_e64 v5, 0, 1, vcc
	v_add_u32_e32 v7, 0xfffffc10, v6
	v_cvt_f32_f16_e32 v8, v8
	v_or_b32_e32 v5, v10, v5
	v_lshl_or_b32 v6, v7, 12, v1
	v_cmp_gt_i32_e32 vcc, 1, v7
	v_cndmask_b32_e32 v5, v6, v5, vcc
	v_and_b32_e32 v6, 7, v5
	v_cmp_lt_i32_e32 vcc, 5, v6
	v_cmp_eq_u32_e64 s[0:1], 3, v6
	v_lshrrev_b32_e32 v9, 2, v5
	v_cvt_f64_f32_e32 v[5:6], v8
	s_or_b64 vcc, s[0:1], vcc
	v_addc_co_u32_e32 v8, vcc, 0, v9, vcc
	v_mul_f64 v[5:6], v[5:6], s[2:3]
	v_cmp_gt_i32_e32 vcc, 31, v7
	v_cndmask_b32_e32 v8, v0, v8, vcc
	v_cmp_ne_u32_e32 vcc, 0, v1
	v_cndmask_b32_e64 v1, 0, 1, vcc
	v_lshl_or_b32 v1, v1, 9, v0
	v_cmp_eq_u32_e32 vcc, s10, v7
	v_cndmask_b32_e32 v1, v8, v1, vcc
	v_lshrrev_b32_e32 v2, 16, v2
	v_and_or_b32 v7, v2, s11, v1
	v_and_or_b32 v1, v6, s6, v5
	v_cmp_ne_u32_e32 vcc, 0, v1
	v_cndmask_b32_e64 v1, 0, 1, vcc
	v_lshrrev_b32_e32 v2, 8, v6
	v_bfe_u32 v5, v6, 20, 11
	v_and_or_b32 v1, v2, s7, v1
	v_sub_u32_e32 v8, 0x3f1, v5
	v_or_b32_e32 v2, 0x1000, v1
	v_med3_i32 v8, v8, 0, 13
	v_lshrrev_b32_e32 v9, v8, v2
	v_lshlrev_b32_e32 v8, v8, v9
	v_cmp_ne_u32_e32 vcc, v8, v2
	v_cndmask_b32_e64 v2, 0, 1, vcc
	v_add_u32_e32 v5, 0xfffffc10, v5
	v_or_b32_e32 v2, v9, v2
	v_lshl_or_b32 v8, v5, 12, v1
	v_cmp_gt_i32_e32 vcc, 1, v5
	v_cndmask_b32_e32 v2, v8, v2, vcc
	v_and_b32_e32 v8, 7, v2
	v_cmp_lt_i32_e32 vcc, 5, v8
	v_cmp_eq_u32_e64 s[0:1], 3, v8
	v_lshrrev_b32_e32 v8, 16, v11
	v_lshrrev_b32_e32 v2, 2, v2
	s_or_b64 vcc, s[0:1], vcc
	v_mul_f16_sdwa v9, v54, v8 dst_sel:DWORD dst_unused:UNUSED_PAD src0_sel:WORD_1 src1_sel:DWORD
	v_addc_co_u32_e32 v2, vcc, 0, v2, vcc
	v_fma_f16 v9, v54, v11, v9
	v_cmp_gt_i32_e32 vcc, 31, v5
	v_cvt_f32_f16_e32 v9, v9
	v_cndmask_b32_e32 v2, v0, v2, vcc
	v_cmp_ne_u32_e32 vcc, 0, v1
	v_cndmask_b32_e64 v1, 0, 1, vcc
	v_lshl_or_b32 v1, v1, 9, v0
	v_cmp_eq_u32_e32 vcc, s10, v5
	v_cndmask_b32_e32 v5, v2, v1, vcc
	v_cvt_f64_f32_e32 v[1:2], v9
	v_lshrrev_b32_e32 v6, 16, v6
	v_and_or_b32 v5, v6, s11, v5
	v_and_b32_e32 v6, 0xffff, v7
	v_mul_f64 v[1:2], v[1:2], s[2:3]
	v_lshl_or_b32 v5, v5, 16, v6
	v_mov_b32_e32 v6, s4
	v_add_co_u32_e32 v3, vcc, s5, v3
	v_addc_co_u32_e32 v4, vcc, v4, v6, vcc
	global_store_dword v[3:4], v5, off
	v_and_or_b32 v1, v2, s6, v1
	v_cmp_ne_u32_e32 vcc, 0, v1
	v_cndmask_b32_e64 v1, 0, 1, vcc
	v_lshrrev_b32_e32 v5, 8, v2
	v_bfe_u32 v6, v2, 20, 11
	v_and_or_b32 v1, v5, s7, v1
	v_sub_u32_e32 v7, 0x3f1, v6
	v_or_b32_e32 v5, 0x1000, v1
	v_med3_i32 v7, v7, 0, 13
	v_lshrrev_b32_e32 v9, v7, v5
	v_lshlrev_b32_e32 v7, v7, v9
	v_cmp_ne_u32_e32 vcc, v7, v5
	v_cndmask_b32_e64 v5, 0, 1, vcc
	v_or_b32_e32 v5, v9, v5
	v_mul_f16_sdwa v9, v54, v11 dst_sel:DWORD dst_unused:UNUSED_PAD src0_sel:WORD_1 src1_sel:DWORD
	v_fma_f16 v8, v54, v8, -v9
	v_add_u32_e32 v7, 0xfffffc10, v6
	v_cvt_f32_f16_e32 v8, v8
	v_lshl_or_b32 v6, v7, 12, v1
	v_cmp_gt_i32_e32 vcc, 1, v7
	v_cndmask_b32_e32 v5, v6, v5, vcc
	v_and_b32_e32 v6, 7, v5
	v_cmp_lt_i32_e32 vcc, 5, v6
	v_cmp_eq_u32_e64 s[0:1], 3, v6
	v_lshrrev_b32_e32 v9, 2, v5
	v_cvt_f64_f32_e32 v[5:6], v8
	s_or_b64 vcc, s[0:1], vcc
	v_addc_co_u32_e32 v8, vcc, 0, v9, vcc
	v_mul_f64 v[5:6], v[5:6], s[2:3]
	v_cmp_gt_i32_e32 vcc, 31, v7
	v_cndmask_b32_e32 v8, v0, v8, vcc
	v_cmp_ne_u32_e32 vcc, 0, v1
	v_cndmask_b32_e64 v1, 0, 1, vcc
	v_lshl_or_b32 v1, v1, 9, v0
	v_cmp_eq_u32_e32 vcc, s10, v7
	v_cndmask_b32_e32 v1, v8, v1, vcc
	v_lshrrev_b32_e32 v2, 16, v2
	v_and_or_b32 v7, v2, s11, v1
	v_and_or_b32 v1, v6, s6, v5
	v_cmp_ne_u32_e32 vcc, 0, v1
	v_cndmask_b32_e64 v1, 0, 1, vcc
	v_lshrrev_b32_e32 v2, 8, v6
	v_bfe_u32 v5, v6, 20, 11
	v_and_or_b32 v1, v2, s7, v1
	v_sub_u32_e32 v8, 0x3f1, v5
	v_or_b32_e32 v2, 0x1000, v1
	v_med3_i32 v8, v8, 0, 13
	v_lshrrev_b32_e32 v9, v8, v2
	v_lshlrev_b32_e32 v8, v8, v9
	v_cmp_ne_u32_e32 vcc, v8, v2
	v_cndmask_b32_e64 v2, 0, 1, vcc
	v_add_u32_e32 v5, 0xfffffc10, v5
	v_or_b32_e32 v2, v9, v2
	v_lshl_or_b32 v8, v5, 12, v1
	v_cmp_gt_i32_e32 vcc, 1, v5
	v_cndmask_b32_e32 v2, v8, v2, vcc
	v_and_b32_e32 v8, 7, v2
	v_cmp_lt_i32_e32 vcc, 5, v8
	v_cmp_eq_u32_e64 s[0:1], 3, v8
	v_lshrrev_b32_e32 v8, 16, v13
	v_lshrrev_b32_e32 v2, 2, v2
	s_or_b64 vcc, s[0:1], vcc
	v_mul_f16_sdwa v9, v53, v8 dst_sel:DWORD dst_unused:UNUSED_PAD src0_sel:WORD_1 src1_sel:DWORD
	v_addc_co_u32_e32 v2, vcc, 0, v2, vcc
	v_fma_f16 v9, v53, v13, v9
	v_cmp_gt_i32_e32 vcc, 31, v5
	v_cvt_f32_f16_e32 v9, v9
	v_cndmask_b32_e32 v2, v0, v2, vcc
	v_cmp_ne_u32_e32 vcc, 0, v1
	v_cndmask_b32_e64 v1, 0, 1, vcc
	v_lshl_or_b32 v1, v1, 9, v0
	v_cmp_eq_u32_e32 vcc, s10, v5
	v_cndmask_b32_e32 v5, v2, v1, vcc
	v_cvt_f64_f32_e32 v[1:2], v9
	v_lshrrev_b32_e32 v6, 16, v6
	v_and_or_b32 v5, v6, s11, v5
	v_and_b32_e32 v6, 0xffff, v7
	v_mul_f64 v[1:2], v[1:2], s[2:3]
	v_lshl_or_b32 v5, v5, 16, v6
	v_mov_b32_e32 v6, s4
	v_add_co_u32_e32 v3, vcc, s5, v3
	v_addc_co_u32_e32 v4, vcc, v4, v6, vcc
	global_store_dword v[3:4], v5, off
	v_and_or_b32 v1, v2, s6, v1
	v_cmp_ne_u32_e32 vcc, 0, v1
	v_cndmask_b32_e64 v1, 0, 1, vcc
	v_lshrrev_b32_e32 v5, 8, v2
	v_bfe_u32 v6, v2, 20, 11
	v_and_or_b32 v1, v5, s7, v1
	v_sub_u32_e32 v7, 0x3f1, v6
	v_or_b32_e32 v5, 0x1000, v1
	v_med3_i32 v7, v7, 0, 13
	v_lshrrev_b32_e32 v9, v7, v5
	v_lshlrev_b32_e32 v7, v7, v9
	v_cmp_ne_u32_e32 vcc, v7, v5
	v_cndmask_b32_e64 v5, 0, 1, vcc
	v_or_b32_e32 v5, v9, v5
	v_mul_f16_sdwa v9, v53, v13 dst_sel:DWORD dst_unused:UNUSED_PAD src0_sel:WORD_1 src1_sel:DWORD
	v_fma_f16 v8, v53, v8, -v9
	v_add_u32_e32 v7, 0xfffffc10, v6
	v_cvt_f32_f16_e32 v8, v8
	v_lshl_or_b32 v6, v7, 12, v1
	v_cmp_gt_i32_e32 vcc, 1, v7
	v_cndmask_b32_e32 v5, v6, v5, vcc
	v_and_b32_e32 v6, 7, v5
	v_cmp_lt_i32_e32 vcc, 5, v6
	v_cmp_eq_u32_e64 s[0:1], 3, v6
	v_lshrrev_b32_e32 v9, 2, v5
	v_cvt_f64_f32_e32 v[5:6], v8
	s_or_b64 vcc, s[0:1], vcc
	v_addc_co_u32_e32 v8, vcc, 0, v9, vcc
	v_mul_f64 v[5:6], v[5:6], s[2:3]
	v_cmp_gt_i32_e32 vcc, 31, v7
	v_cndmask_b32_e32 v8, v0, v8, vcc
	v_cmp_ne_u32_e32 vcc, 0, v1
	v_cndmask_b32_e64 v1, 0, 1, vcc
	v_lshl_or_b32 v1, v1, 9, v0
	v_cmp_eq_u32_e32 vcc, s10, v7
	v_cndmask_b32_e32 v1, v8, v1, vcc
	v_lshrrev_b32_e32 v2, 16, v2
	v_and_or_b32 v7, v2, s11, v1
	v_and_or_b32 v1, v6, s6, v5
	v_cmp_ne_u32_e32 vcc, 0, v1
	v_cndmask_b32_e64 v1, 0, 1, vcc
	v_lshrrev_b32_e32 v2, 8, v6
	v_bfe_u32 v5, v6, 20, 11
	v_and_or_b32 v1, v2, s7, v1
	v_sub_u32_e32 v8, 0x3f1, v5
	v_or_b32_e32 v2, 0x1000, v1
	v_med3_i32 v8, v8, 0, 13
	v_lshrrev_b32_e32 v9, v8, v2
	v_lshlrev_b32_e32 v8, v8, v9
	v_cmp_ne_u32_e32 vcc, v8, v2
	v_cndmask_b32_e64 v2, 0, 1, vcc
	v_add_u32_e32 v5, 0xfffffc10, v5
	v_or_b32_e32 v2, v9, v2
	v_lshl_or_b32 v8, v5, 12, v1
	v_cmp_gt_i32_e32 vcc, 1, v5
	v_cndmask_b32_e32 v2, v8, v2, vcc
	v_and_b32_e32 v8, 7, v2
	v_cmp_lt_i32_e32 vcc, 5, v8
	v_cmp_eq_u32_e64 s[0:1], 3, v8
	v_lshrrev_b32_e32 v8, 16, v15
	v_lshrrev_b32_e32 v2, 2, v2
	s_or_b64 vcc, s[0:1], vcc
	v_mul_f16_sdwa v9, v52, v8 dst_sel:DWORD dst_unused:UNUSED_PAD src0_sel:WORD_1 src1_sel:DWORD
	v_addc_co_u32_e32 v2, vcc, 0, v2, vcc
	v_fma_f16 v9, v52, v15, v9
	v_cmp_gt_i32_e32 vcc, 31, v5
	v_cvt_f32_f16_e32 v9, v9
	v_cndmask_b32_e32 v2, v0, v2, vcc
	v_cmp_ne_u32_e32 vcc, 0, v1
	v_cndmask_b32_e64 v1, 0, 1, vcc
	v_lshl_or_b32 v1, v1, 9, v0
	v_cmp_eq_u32_e32 vcc, s10, v5
	v_cndmask_b32_e32 v5, v2, v1, vcc
	v_cvt_f64_f32_e32 v[1:2], v9
	v_lshrrev_b32_e32 v6, 16, v6
	v_and_or_b32 v5, v6, s11, v5
	v_and_b32_e32 v6, 0xffff, v7
	v_mul_f64 v[1:2], v[1:2], s[2:3]
	v_lshl_or_b32 v5, v5, 16, v6
	v_mov_b32_e32 v6, s4
	v_add_co_u32_e32 v3, vcc, s5, v3
	v_addc_co_u32_e32 v4, vcc, v4, v6, vcc
	global_store_dword v[3:4], v5, off
	v_and_or_b32 v1, v2, s6, v1
	v_cmp_ne_u32_e32 vcc, 0, v1
	v_cndmask_b32_e64 v1, 0, 1, vcc
	v_lshrrev_b32_e32 v5, 8, v2
	v_bfe_u32 v6, v2, 20, 11
	v_and_or_b32 v1, v5, s7, v1
	v_sub_u32_e32 v7, 0x3f1, v6
	v_or_b32_e32 v5, 0x1000, v1
	v_med3_i32 v7, v7, 0, 13
	v_lshrrev_b32_e32 v9, v7, v5
	v_lshlrev_b32_e32 v7, v7, v9
	v_cmp_ne_u32_e32 vcc, v7, v5
	v_cndmask_b32_e64 v5, 0, 1, vcc
	v_or_b32_e32 v5, v9, v5
	v_mul_f16_sdwa v9, v52, v15 dst_sel:DWORD dst_unused:UNUSED_PAD src0_sel:WORD_1 src1_sel:DWORD
	v_fma_f16 v8, v52, v8, -v9
	v_add_u32_e32 v7, 0xfffffc10, v6
	v_cvt_f32_f16_e32 v8, v8
	v_lshl_or_b32 v6, v7, 12, v1
	v_cmp_gt_i32_e32 vcc, 1, v7
	v_cndmask_b32_e32 v5, v6, v5, vcc
	v_and_b32_e32 v6, 7, v5
	v_cmp_lt_i32_e32 vcc, 5, v6
	v_cmp_eq_u32_e64 s[0:1], 3, v6
	v_lshrrev_b32_e32 v9, 2, v5
	v_cvt_f64_f32_e32 v[5:6], v8
	s_or_b64 vcc, s[0:1], vcc
	v_addc_co_u32_e32 v8, vcc, 0, v9, vcc
	v_mul_f64 v[5:6], v[5:6], s[2:3]
	v_cmp_gt_i32_e32 vcc, 31, v7
	v_cndmask_b32_e32 v8, v0, v8, vcc
	v_cmp_ne_u32_e32 vcc, 0, v1
	v_cndmask_b32_e64 v1, 0, 1, vcc
	v_lshl_or_b32 v1, v1, 9, v0
	v_cmp_eq_u32_e32 vcc, s10, v7
	v_cndmask_b32_e32 v1, v8, v1, vcc
	v_lshrrev_b32_e32 v2, 16, v2
	v_and_or_b32 v7, v2, s11, v1
	v_and_or_b32 v1, v6, s6, v5
	v_cmp_ne_u32_e32 vcc, 0, v1
	v_cndmask_b32_e64 v1, 0, 1, vcc
	v_lshrrev_b32_e32 v2, 8, v6
	v_bfe_u32 v5, v6, 20, 11
	v_and_or_b32 v1, v2, s7, v1
	v_sub_u32_e32 v8, 0x3f1, v5
	v_or_b32_e32 v2, 0x1000, v1
	v_med3_i32 v8, v8, 0, 13
	v_lshrrev_b32_e32 v9, v8, v2
	v_lshlrev_b32_e32 v8, v8, v9
	v_cmp_ne_u32_e32 vcc, v8, v2
	v_cndmask_b32_e64 v2, 0, 1, vcc
	v_add_u32_e32 v5, 0xfffffc10, v5
	v_or_b32_e32 v2, v9, v2
	v_lshl_or_b32 v8, v5, 12, v1
	v_cmp_gt_i32_e32 vcc, 1, v5
	v_cndmask_b32_e32 v2, v8, v2, vcc
	v_and_b32_e32 v8, 7, v2
	v_cmp_lt_i32_e32 vcc, 5, v8
	v_cmp_eq_u32_e64 s[0:1], 3, v8
	v_lshrrev_b32_e32 v8, 16, v17
	v_lshrrev_b32_e32 v2, 2, v2
	s_or_b64 vcc, s[0:1], vcc
	v_mul_f16_sdwa v9, v51, v8 dst_sel:DWORD dst_unused:UNUSED_PAD src0_sel:WORD_1 src1_sel:DWORD
	v_addc_co_u32_e32 v2, vcc, 0, v2, vcc
	v_fma_f16 v9, v51, v17, v9
	v_cmp_gt_i32_e32 vcc, 31, v5
	v_cvt_f32_f16_e32 v9, v9
	v_cndmask_b32_e32 v2, v0, v2, vcc
	v_cmp_ne_u32_e32 vcc, 0, v1
	v_cndmask_b32_e64 v1, 0, 1, vcc
	v_lshl_or_b32 v1, v1, 9, v0
	v_cmp_eq_u32_e32 vcc, s10, v5
	v_cndmask_b32_e32 v5, v2, v1, vcc
	v_cvt_f64_f32_e32 v[1:2], v9
	v_lshrrev_b32_e32 v6, 16, v6
	v_and_or_b32 v5, v6, s11, v5
	v_and_b32_e32 v6, 0xffff, v7
	v_mul_f64 v[1:2], v[1:2], s[2:3]
	v_lshl_or_b32 v5, v5, 16, v6
	v_mov_b32_e32 v6, s4
	v_add_co_u32_e32 v3, vcc, s5, v3
	v_addc_co_u32_e32 v4, vcc, v4, v6, vcc
	global_store_dword v[3:4], v5, off
	v_and_or_b32 v1, v2, s6, v1
	v_cmp_ne_u32_e32 vcc, 0, v1
	v_cndmask_b32_e64 v1, 0, 1, vcc
	v_lshrrev_b32_e32 v5, 8, v2
	v_bfe_u32 v6, v2, 20, 11
	v_and_or_b32 v1, v5, s7, v1
	v_sub_u32_e32 v7, 0x3f1, v6
	v_or_b32_e32 v5, 0x1000, v1
	v_med3_i32 v7, v7, 0, 13
	v_lshrrev_b32_e32 v9, v7, v5
	v_lshlrev_b32_e32 v7, v7, v9
	v_cmp_ne_u32_e32 vcc, v7, v5
	v_cndmask_b32_e64 v5, 0, 1, vcc
	v_or_b32_e32 v5, v9, v5
	v_mul_f16_sdwa v9, v51, v17 dst_sel:DWORD dst_unused:UNUSED_PAD src0_sel:WORD_1 src1_sel:DWORD
	v_fma_f16 v8, v51, v8, -v9
	v_add_u32_e32 v7, 0xfffffc10, v6
	v_cvt_f32_f16_e32 v8, v8
	v_lshl_or_b32 v6, v7, 12, v1
	v_cmp_gt_i32_e32 vcc, 1, v7
	v_cndmask_b32_e32 v5, v6, v5, vcc
	v_and_b32_e32 v6, 7, v5
	v_cmp_lt_i32_e32 vcc, 5, v6
	v_cmp_eq_u32_e64 s[0:1], 3, v6
	v_lshrrev_b32_e32 v9, 2, v5
	v_cvt_f64_f32_e32 v[5:6], v8
	s_or_b64 vcc, s[0:1], vcc
	v_addc_co_u32_e32 v8, vcc, 0, v9, vcc
	v_mul_f64 v[5:6], v[5:6], s[2:3]
	v_cmp_gt_i32_e32 vcc, 31, v7
	v_cndmask_b32_e32 v8, v0, v8, vcc
	v_cmp_ne_u32_e32 vcc, 0, v1
	v_cndmask_b32_e64 v1, 0, 1, vcc
	v_lshl_or_b32 v1, v1, 9, v0
	v_cmp_eq_u32_e32 vcc, s10, v7
	v_cndmask_b32_e32 v1, v8, v1, vcc
	v_lshrrev_b32_e32 v2, 16, v2
	v_and_or_b32 v7, v2, s11, v1
	v_and_or_b32 v1, v6, s6, v5
	v_cmp_ne_u32_e32 vcc, 0, v1
	v_cndmask_b32_e64 v1, 0, 1, vcc
	v_lshrrev_b32_e32 v2, 8, v6
	v_bfe_u32 v5, v6, 20, 11
	v_and_or_b32 v1, v2, s7, v1
	v_sub_u32_e32 v8, 0x3f1, v5
	v_or_b32_e32 v2, 0x1000, v1
	v_med3_i32 v8, v8, 0, 13
	v_lshrrev_b32_e32 v9, v8, v2
	v_lshlrev_b32_e32 v8, v8, v9
	v_cmp_ne_u32_e32 vcc, v8, v2
	v_cndmask_b32_e64 v2, 0, 1, vcc
	v_add_u32_e32 v5, 0xfffffc10, v5
	v_or_b32_e32 v2, v9, v2
	v_lshl_or_b32 v8, v5, 12, v1
	v_cmp_gt_i32_e32 vcc, 1, v5
	v_cndmask_b32_e32 v2, v8, v2, vcc
	v_and_b32_e32 v8, 7, v2
	v_cmp_lt_i32_e32 vcc, 5, v8
	v_cmp_eq_u32_e64 s[0:1], 3, v8
	v_lshrrev_b32_e32 v8, 16, v19
	v_lshrrev_b32_e32 v2, 2, v2
	s_or_b64 vcc, s[0:1], vcc
	v_mul_f16_sdwa v9, v50, v8 dst_sel:DWORD dst_unused:UNUSED_PAD src0_sel:WORD_1 src1_sel:DWORD
	v_addc_co_u32_e32 v2, vcc, 0, v2, vcc
	v_fma_f16 v9, v50, v19, v9
	v_cmp_gt_i32_e32 vcc, 31, v5
	v_cvt_f32_f16_e32 v9, v9
	v_cndmask_b32_e32 v2, v0, v2, vcc
	v_cmp_ne_u32_e32 vcc, 0, v1
	v_cndmask_b32_e64 v1, 0, 1, vcc
	v_lshl_or_b32 v1, v1, 9, v0
	v_cmp_eq_u32_e32 vcc, s10, v5
	v_cndmask_b32_e32 v5, v2, v1, vcc
	v_cvt_f64_f32_e32 v[1:2], v9
	v_lshrrev_b32_e32 v6, 16, v6
	v_and_or_b32 v5, v6, s11, v5
	v_and_b32_e32 v6, 0xffff, v7
	v_mul_f64 v[1:2], v[1:2], s[2:3]
	v_lshl_or_b32 v5, v5, 16, v6
	v_mov_b32_e32 v6, s4
	v_add_co_u32_e32 v3, vcc, s5, v3
	v_addc_co_u32_e32 v4, vcc, v4, v6, vcc
	global_store_dword v[3:4], v5, off
	v_and_or_b32 v1, v2, s6, v1
	v_cmp_ne_u32_e32 vcc, 0, v1
	v_cndmask_b32_e64 v1, 0, 1, vcc
	v_lshrrev_b32_e32 v5, 8, v2
	v_bfe_u32 v6, v2, 20, 11
	v_and_or_b32 v1, v5, s7, v1
	v_sub_u32_e32 v7, 0x3f1, v6
	v_or_b32_e32 v5, 0x1000, v1
	v_med3_i32 v7, v7, 0, 13
	v_lshrrev_b32_e32 v9, v7, v5
	v_lshlrev_b32_e32 v7, v7, v9
	v_cmp_ne_u32_e32 vcc, v7, v5
	v_cndmask_b32_e64 v5, 0, 1, vcc
	v_or_b32_e32 v5, v9, v5
	v_mul_f16_sdwa v9, v50, v19 dst_sel:DWORD dst_unused:UNUSED_PAD src0_sel:WORD_1 src1_sel:DWORD
	v_fma_f16 v8, v50, v8, -v9
	v_add_u32_e32 v7, 0xfffffc10, v6
	v_cvt_f32_f16_e32 v8, v8
	v_lshl_or_b32 v6, v7, 12, v1
	v_cmp_gt_i32_e32 vcc, 1, v7
	v_cndmask_b32_e32 v5, v6, v5, vcc
	v_and_b32_e32 v6, 7, v5
	v_cmp_lt_i32_e32 vcc, 5, v6
	v_cmp_eq_u32_e64 s[0:1], 3, v6
	v_lshrrev_b32_e32 v9, 2, v5
	v_cvt_f64_f32_e32 v[5:6], v8
	s_or_b64 vcc, s[0:1], vcc
	v_addc_co_u32_e32 v8, vcc, 0, v9, vcc
	v_mul_f64 v[5:6], v[5:6], s[2:3]
	v_cmp_gt_i32_e32 vcc, 31, v7
	v_cndmask_b32_e32 v8, v0, v8, vcc
	v_cmp_ne_u32_e32 vcc, 0, v1
	v_cndmask_b32_e64 v1, 0, 1, vcc
	v_lshl_or_b32 v1, v1, 9, v0
	v_cmp_eq_u32_e32 vcc, s10, v7
	v_cndmask_b32_e32 v1, v8, v1, vcc
	v_lshrrev_b32_e32 v2, 16, v2
	v_and_or_b32 v1, v2, s11, v1
	v_and_or_b32 v2, v6, s6, v5
	v_cmp_ne_u32_e32 vcc, 0, v2
	v_cndmask_b32_e64 v2, 0, 1, vcc
	v_lshrrev_b32_e32 v5, 8, v6
	v_bfe_u32 v7, v6, 20, 11
	v_and_or_b32 v2, v5, s7, v2
	v_sub_u32_e32 v8, 0x3f1, v7
	v_or_b32_e32 v5, 0x1000, v2
	v_med3_i32 v8, v8, 0, 13
	v_lshrrev_b32_e32 v9, v8, v5
	v_lshlrev_b32_e32 v8, v8, v9
	v_cmp_ne_u32_e32 vcc, v8, v5
	v_cndmask_b32_e64 v5, 0, 1, vcc
	v_add_u32_e32 v7, 0xfffffc10, v7
	v_or_b32_e32 v5, v9, v5
	v_lshl_or_b32 v8, v7, 12, v2
	v_cmp_gt_i32_e32 vcc, 1, v7
	v_cndmask_b32_e32 v5, v8, v5, vcc
	v_and_b32_e32 v8, 7, v5
	v_cmp_lt_i32_e32 vcc, 5, v8
	v_cmp_eq_u32_e64 s[0:1], 3, v8
	v_lshrrev_b32_e32 v5, 2, v5
	s_or_b64 vcc, s[0:1], vcc
	v_addc_co_u32_e32 v5, vcc, 0, v5, vcc
	v_cmp_gt_i32_e32 vcc, 31, v7
	v_cndmask_b32_e32 v5, v0, v5, vcc
	v_cmp_ne_u32_e32 vcc, 0, v2
	v_cndmask_b32_e64 v2, 0, 1, vcc
	v_lshl_or_b32 v0, v2, 9, v0
	v_cmp_eq_u32_e32 vcc, s10, v7
	v_cndmask_b32_e32 v0, v5, v0, vcc
	v_lshrrev_b32_e32 v2, 16, v6
	v_and_or_b32 v0, v2, s11, v0
	v_and_b32_e32 v1, 0xffff, v1
	v_lshl_or_b32 v2, v0, 16, v1
	v_mov_b32_e32 v1, s4
	v_add_co_u32_e32 v0, vcc, s5, v3
	v_addc_co_u32_e32 v1, vcc, v4, v1, vcc
	global_store_dword v[0:1], v2, off
.LBB0_2:
	s_endpgm
	.section	.rodata,"a",@progbits
	.p2align	6, 0x0
	.amdhsa_kernel bluestein_single_back_len4000_dim1_half_op_CI_CI
		.amdhsa_group_segment_fixed_size 16000
		.amdhsa_private_segment_fixed_size 0
		.amdhsa_kernarg_size 104
		.amdhsa_user_sgpr_count 6
		.amdhsa_user_sgpr_private_segment_buffer 1
		.amdhsa_user_sgpr_dispatch_ptr 0
		.amdhsa_user_sgpr_queue_ptr 0
		.amdhsa_user_sgpr_kernarg_segment_ptr 1
		.amdhsa_user_sgpr_dispatch_id 0
		.amdhsa_user_sgpr_flat_scratch_init 0
		.amdhsa_user_sgpr_private_segment_size 0
		.amdhsa_uses_dynamic_stack 0
		.amdhsa_system_sgpr_private_segment_wavefront_offset 0
		.amdhsa_system_sgpr_workgroup_id_x 1
		.amdhsa_system_sgpr_workgroup_id_y 0
		.amdhsa_system_sgpr_workgroup_id_z 0
		.amdhsa_system_sgpr_workgroup_info 0
		.amdhsa_system_vgpr_workitem_id 0
		.amdhsa_next_free_vgpr 150
		.amdhsa_next_free_sgpr 20
		.amdhsa_reserve_vcc 1
		.amdhsa_reserve_flat_scratch 0
		.amdhsa_float_round_mode_32 0
		.amdhsa_float_round_mode_16_64 0
		.amdhsa_float_denorm_mode_32 3
		.amdhsa_float_denorm_mode_16_64 3
		.amdhsa_dx10_clamp 1
		.amdhsa_ieee_mode 1
		.amdhsa_fp16_overflow 0
		.amdhsa_exception_fp_ieee_invalid_op 0
		.amdhsa_exception_fp_denorm_src 0
		.amdhsa_exception_fp_ieee_div_zero 0
		.amdhsa_exception_fp_ieee_overflow 0
		.amdhsa_exception_fp_ieee_underflow 0
		.amdhsa_exception_fp_ieee_inexact 0
		.amdhsa_exception_int_div_zero 0
	.end_amdhsa_kernel
	.text
.Lfunc_end0:
	.size	bluestein_single_back_len4000_dim1_half_op_CI_CI, .Lfunc_end0-bluestein_single_back_len4000_dim1_half_op_CI_CI
                                        ; -- End function
	.section	.AMDGPU.csdata,"",@progbits
; Kernel info:
; codeLenInByte = 32336
; NumSgprs: 24
; NumVgprs: 150
; ScratchSize: 0
; MemoryBound: 0
; FloatMode: 240
; IeeeMode: 1
; LDSByteSize: 16000 bytes/workgroup (compile time only)
; SGPRBlocks: 2
; VGPRBlocks: 37
; NumSGPRsForWavesPerEU: 24
; NumVGPRsForWavesPerEU: 150
; Occupancy: 1
; WaveLimiterHint : 1
; COMPUTE_PGM_RSRC2:SCRATCH_EN: 0
; COMPUTE_PGM_RSRC2:USER_SGPR: 6
; COMPUTE_PGM_RSRC2:TRAP_HANDLER: 0
; COMPUTE_PGM_RSRC2:TGID_X_EN: 1
; COMPUTE_PGM_RSRC2:TGID_Y_EN: 0
; COMPUTE_PGM_RSRC2:TGID_Z_EN: 0
; COMPUTE_PGM_RSRC2:TIDIG_COMP_CNT: 0
	.type	__hip_cuid_3da7de6d74702652,@object ; @__hip_cuid_3da7de6d74702652
	.section	.bss,"aw",@nobits
	.globl	__hip_cuid_3da7de6d74702652
__hip_cuid_3da7de6d74702652:
	.byte	0                               ; 0x0
	.size	__hip_cuid_3da7de6d74702652, 1

	.ident	"AMD clang version 19.0.0git (https://github.com/RadeonOpenCompute/llvm-project roc-6.4.0 25133 c7fe45cf4b819c5991fe208aaa96edf142730f1d)"
	.section	".note.GNU-stack","",@progbits
	.addrsig
	.addrsig_sym __hip_cuid_3da7de6d74702652
	.amdgpu_metadata
---
amdhsa.kernels:
  - .args:
      - .actual_access:  read_only
        .address_space:  global
        .offset:         0
        .size:           8
        .value_kind:     global_buffer
      - .actual_access:  read_only
        .address_space:  global
        .offset:         8
        .size:           8
        .value_kind:     global_buffer
      - .actual_access:  read_only
        .address_space:  global
        .offset:         16
        .size:           8
        .value_kind:     global_buffer
      - .actual_access:  read_only
        .address_space:  global
        .offset:         24
        .size:           8
        .value_kind:     global_buffer
      - .actual_access:  read_only
        .address_space:  global
        .offset:         32
        .size:           8
        .value_kind:     global_buffer
      - .offset:         40
        .size:           8
        .value_kind:     by_value
      - .address_space:  global
        .offset:         48
        .size:           8
        .value_kind:     global_buffer
      - .address_space:  global
        .offset:         56
        .size:           8
        .value_kind:     global_buffer
      - .address_space:  global
        .offset:         64
        .size:           8
        .value_kind:     global_buffer
      - .address_space:  global
        .offset:         72
        .size:           8
        .value_kind:     global_buffer
      - .offset:         80
        .size:           4
        .value_kind:     by_value
      - .address_space:  global
        .offset:         88
        .size:           8
        .value_kind:     global_buffer
      - .address_space:  global
        .offset:         96
        .size:           8
        .value_kind:     global_buffer
    .group_segment_fixed_size: 16000
    .kernarg_segment_align: 8
    .kernarg_segment_size: 104
    .language:       OpenCL C
    .language_version:
      - 2
      - 0
    .max_flat_workgroup_size: 200
    .name:           bluestein_single_back_len4000_dim1_half_op_CI_CI
    .private_segment_fixed_size: 0
    .sgpr_count:     24
    .sgpr_spill_count: 0
    .symbol:         bluestein_single_back_len4000_dim1_half_op_CI_CI.kd
    .uniform_work_group_size: 1
    .uses_dynamic_stack: false
    .vgpr_count:     150
    .vgpr_spill_count: 0
    .wavefront_size: 64
amdhsa.target:   amdgcn-amd-amdhsa--gfx906
amdhsa.version:
  - 1
  - 2
...

	.end_amdgpu_metadata
